;; amdgpu-corpus repo=ROCm/rocFFT kind=compiled arch=gfx950 opt=O3
	.text
	.amdgcn_target "amdgcn-amd-amdhsa--gfx950"
	.amdhsa_code_object_version 6
	.protected	fft_rtc_back_len714_factors_3_17_7_2_wgs_51_tpt_51_halfLds_dp_op_CI_CI_unitstride_sbrr_R2C_dirReg ; -- Begin function fft_rtc_back_len714_factors_3_17_7_2_wgs_51_tpt_51_halfLds_dp_op_CI_CI_unitstride_sbrr_R2C_dirReg
	.globl	fft_rtc_back_len714_factors_3_17_7_2_wgs_51_tpt_51_halfLds_dp_op_CI_CI_unitstride_sbrr_R2C_dirReg
	.p2align	8
	.type	fft_rtc_back_len714_factors_3_17_7_2_wgs_51_tpt_51_halfLds_dp_op_CI_CI_unitstride_sbrr_R2C_dirReg,@function
fft_rtc_back_len714_factors_3_17_7_2_wgs_51_tpt_51_halfLds_dp_op_CI_CI_unitstride_sbrr_R2C_dirReg: ; @fft_rtc_back_len714_factors_3_17_7_2_wgs_51_tpt_51_halfLds_dp_op_CI_CI_unitstride_sbrr_R2C_dirReg
; %bb.0:
	s_load_dwordx4 s[4:7], s[0:1], 0x58
	s_load_dwordx4 s[8:11], s[0:1], 0x0
	;; [unrolled: 1-line block ×3, first 2 shown]
	v_mul_u32_u24_e32 v1, 0x506, v0
	v_add_u32_sdwa v6, s2, v1 dst_sel:DWORD dst_unused:UNUSED_PAD src0_sel:DWORD src1_sel:WORD_1
	v_mov_b32_e32 v4, 0
	s_waitcnt lgkmcnt(0)
	v_cmp_lt_u64_e64 s[2:3], s[10:11], 2
	v_mov_b32_e32 v7, v4
	s_and_b64 vcc, exec, s[2:3]
	v_mov_b64_e32 v[2:3], 0
	s_cbranch_vccnz .LBB0_8
; %bb.1:
	s_load_dwordx2 s[2:3], s[0:1], 0x10
	s_add_u32 s16, s14, 8
	s_addc_u32 s17, s15, 0
	s_add_u32 s18, s12, 8
	s_addc_u32 s19, s13, 0
	s_waitcnt lgkmcnt(0)
	s_add_u32 s20, s2, 8
	v_mov_b64_e32 v[2:3], 0
	s_addc_u32 s21, s3, 0
	s_mov_b64 s[22:23], 1
	v_mov_b64_e32 v[80:81], v[2:3]
.LBB0_2:                                ; =>This Inner Loop Header: Depth=1
	s_load_dwordx2 s[24:25], s[20:21], 0x0
                                        ; implicit-def: $vgpr84_vgpr85
	s_waitcnt lgkmcnt(0)
	v_or_b32_e32 v5, s25, v7
	v_cmp_ne_u64_e32 vcc, 0, v[4:5]
	s_and_saveexec_b64 s[2:3], vcc
	s_xor_b64 s[26:27], exec, s[2:3]
	s_cbranch_execz .LBB0_4
; %bb.3:                                ;   in Loop: Header=BB0_2 Depth=1
	v_cvt_f32_u32_e32 v1, s24
	v_cvt_f32_u32_e32 v5, s25
	s_sub_u32 s2, 0, s24
	s_subb_u32 s3, 0, s25
	v_fmac_f32_e32 v1, 0x4f800000, v5
	v_rcp_f32_e32 v1, v1
	s_nop 0
	v_mul_f32_e32 v1, 0x5f7ffffc, v1
	v_mul_f32_e32 v5, 0x2f800000, v1
	v_trunc_f32_e32 v5, v5
	v_fmac_f32_e32 v1, 0xcf800000, v5
	v_cvt_u32_f32_e32 v5, v5
	v_cvt_u32_f32_e32 v1, v1
	v_mul_lo_u32 v8, s2, v5
	v_mul_hi_u32 v10, s2, v1
	v_mul_lo_u32 v9, s3, v1
	v_add_u32_e32 v10, v10, v8
	v_mul_lo_u32 v12, s2, v1
	v_add_u32_e32 v13, v10, v9
	v_mul_hi_u32 v8, v1, v12
	v_mul_hi_u32 v11, v1, v13
	v_mul_lo_u32 v10, v1, v13
	v_mov_b32_e32 v9, v4
	v_lshl_add_u64 v[8:9], v[8:9], 0, v[10:11]
	v_mul_hi_u32 v11, v5, v12
	v_mul_lo_u32 v12, v5, v12
	v_add_co_u32_e32 v8, vcc, v8, v12
	v_mul_hi_u32 v10, v5, v13
	s_nop 0
	v_addc_co_u32_e32 v8, vcc, v9, v11, vcc
	v_mov_b32_e32 v9, v4
	s_nop 0
	v_addc_co_u32_e32 v11, vcc, 0, v10, vcc
	v_mul_lo_u32 v10, v5, v13
	v_lshl_add_u64 v[8:9], v[8:9], 0, v[10:11]
	v_add_co_u32_e32 v1, vcc, v1, v8
	v_mul_lo_u32 v10, s2, v1
	s_nop 0
	v_addc_co_u32_e32 v5, vcc, v5, v9, vcc
	v_mul_lo_u32 v8, s2, v5
	v_mul_hi_u32 v9, s2, v1
	v_add_u32_e32 v8, v9, v8
	v_mul_lo_u32 v9, s3, v1
	v_add_u32_e32 v12, v8, v9
	v_mul_hi_u32 v14, v5, v10
	v_mul_lo_u32 v15, v5, v10
	v_mul_hi_u32 v9, v1, v12
	v_mul_lo_u32 v8, v1, v12
	v_mul_hi_u32 v10, v1, v10
	v_mov_b32_e32 v11, v4
	v_lshl_add_u64 v[8:9], v[10:11], 0, v[8:9]
	v_add_co_u32_e32 v8, vcc, v8, v15
	v_mul_hi_u32 v13, v5, v12
	s_nop 0
	v_addc_co_u32_e32 v8, vcc, v9, v14, vcc
	v_mul_lo_u32 v10, v5, v12
	s_nop 0
	v_addc_co_u32_e32 v11, vcc, 0, v13, vcc
	v_mov_b32_e32 v9, v4
	v_lshl_add_u64 v[8:9], v[8:9], 0, v[10:11]
	v_add_co_u32_e32 v1, vcc, v1, v8
	v_mul_hi_u32 v10, v6, v1
	s_nop 0
	v_addc_co_u32_e32 v5, vcc, v5, v9, vcc
	v_mad_u64_u32 v[8:9], s[2:3], v6, v5, 0
	v_mov_b32_e32 v11, v4
	v_lshl_add_u64 v[8:9], v[10:11], 0, v[8:9]
	v_mad_u64_u32 v[12:13], s[2:3], v7, v1, 0
	v_add_co_u32_e32 v1, vcc, v8, v12
	v_mad_u64_u32 v[10:11], s[2:3], v7, v5, 0
	s_nop 0
	v_addc_co_u32_e32 v8, vcc, v9, v13, vcc
	v_mov_b32_e32 v9, v4
	s_nop 0
	v_addc_co_u32_e32 v11, vcc, 0, v11, vcc
	v_lshl_add_u64 v[8:9], v[8:9], 0, v[10:11]
	v_mul_lo_u32 v1, s25, v8
	v_mul_lo_u32 v5, s24, v9
	v_mad_u64_u32 v[10:11], s[2:3], s24, v8, 0
	v_add3_u32 v1, v11, v5, v1
	v_sub_u32_e32 v5, v7, v1
	v_mov_b32_e32 v11, s25
	v_sub_co_u32_e32 v14, vcc, v6, v10
	v_lshl_add_u64 v[12:13], v[8:9], 0, 1
	s_nop 0
	v_subb_co_u32_e64 v5, s[2:3], v5, v11, vcc
	v_subrev_co_u32_e64 v10, s[2:3], s24, v14
	v_subb_co_u32_e32 v1, vcc, v7, v1, vcc
	s_nop 0
	v_subbrev_co_u32_e64 v5, s[2:3], 0, v5, s[2:3]
	v_cmp_le_u32_e64 s[2:3], s25, v5
	v_cmp_le_u32_e32 vcc, s25, v1
	s_nop 0
	v_cndmask_b32_e64 v11, 0, -1, s[2:3]
	v_cmp_le_u32_e64 s[2:3], s24, v10
	s_nop 1
	v_cndmask_b32_e64 v10, 0, -1, s[2:3]
	v_cmp_eq_u32_e64 s[2:3], s25, v5
	s_nop 1
	v_cndmask_b32_e64 v5, v11, v10, s[2:3]
	v_lshl_add_u64 v[10:11], v[8:9], 0, 2
	v_cmp_ne_u32_e64 s[2:3], 0, v5
	s_nop 1
	v_cndmask_b32_e64 v5, v13, v11, s[2:3]
	v_cndmask_b32_e64 v11, 0, -1, vcc
	v_cmp_le_u32_e32 vcc, s24, v14
	s_nop 1
	v_cndmask_b32_e64 v13, 0, -1, vcc
	v_cmp_eq_u32_e32 vcc, s25, v1
	s_nop 1
	v_cndmask_b32_e32 v1, v11, v13, vcc
	v_cmp_ne_u32_e32 vcc, 0, v1
	v_cndmask_b32_e64 v1, v12, v10, s[2:3]
	s_nop 0
	v_cndmask_b32_e32 v85, v9, v5, vcc
	v_cndmask_b32_e32 v84, v8, v1, vcc
.LBB0_4:                                ;   in Loop: Header=BB0_2 Depth=1
	s_andn2_saveexec_b64 s[2:3], s[26:27]
	s_cbranch_execz .LBB0_6
; %bb.5:                                ;   in Loop: Header=BB0_2 Depth=1
	v_cvt_f32_u32_e32 v1, s24
	s_sub_i32 s26, 0, s24
	v_mov_b32_e32 v85, v4
	v_rcp_iflag_f32_e32 v1, v1
	s_nop 0
	v_mul_f32_e32 v1, 0x4f7ffffe, v1
	v_cvt_u32_f32_e32 v1, v1
	v_mul_lo_u32 v5, s26, v1
	v_mul_hi_u32 v5, v1, v5
	v_add_u32_e32 v1, v1, v5
	v_mul_hi_u32 v1, v6, v1
	v_mul_lo_u32 v5, v1, s24
	v_sub_u32_e32 v5, v6, v5
	v_add_u32_e32 v8, 1, v1
	v_subrev_u32_e32 v9, s24, v5
	v_cmp_le_u32_e32 vcc, s24, v5
	s_nop 1
	v_cndmask_b32_e32 v5, v5, v9, vcc
	v_cndmask_b32_e32 v1, v1, v8, vcc
	v_add_u32_e32 v8, 1, v1
	v_cmp_le_u32_e32 vcc, s24, v5
	s_nop 1
	v_cndmask_b32_e32 v84, v1, v8, vcc
.LBB0_6:                                ;   in Loop: Header=BB0_2 Depth=1
	s_or_b64 exec, exec, s[2:3]
	v_mad_u64_u32 v[8:9], s[2:3], v84, s24, 0
	s_load_dwordx2 s[2:3], s[18:19], 0x0
	v_mul_lo_u32 v1, v85, s24
	v_mul_lo_u32 v5, v84, s25
	s_load_dwordx2 s[24:25], s[16:17], 0x0
	s_add_u32 s22, s22, 1
	v_add3_u32 v1, v9, v5, v1
	v_sub_co_u32_e32 v5, vcc, v6, v8
	s_addc_u32 s23, s23, 0
	s_nop 0
	v_subb_co_u32_e32 v1, vcc, v7, v1, vcc
	s_add_u32 s16, s16, 8
	s_waitcnt lgkmcnt(0)
	v_mul_lo_u32 v6, s2, v1
	v_mul_lo_u32 v7, s3, v5
	v_mad_u64_u32 v[2:3], s[2:3], s2, v5, v[2:3]
	s_addc_u32 s17, s17, 0
	v_add3_u32 v3, v7, v3, v6
	v_mul_lo_u32 v1, s24, v1
	v_mul_lo_u32 v6, s25, v5
	v_mad_u64_u32 v[80:81], s[2:3], s24, v5, v[80:81]
	s_add_u32 s18, s18, 8
	v_add3_u32 v81, v6, v81, v1
	s_addc_u32 s19, s19, 0
	v_mov_b64_e32 v[6:7], s[10:11]
	s_add_u32 s20, s20, 8
	v_cmp_ge_u64_e32 vcc, s[22:23], v[6:7]
	s_addc_u32 s21, s21, 0
	s_cbranch_vccnz .LBB0_9
; %bb.7:                                ;   in Loop: Header=BB0_2 Depth=1
	v_mov_b64_e32 v[6:7], v[84:85]
	s_branch .LBB0_2
.LBB0_8:
	v_mov_b64_e32 v[80:81], v[2:3]
	v_mov_b64_e32 v[84:85], v[6:7]
.LBB0_9:
	s_load_dwordx2 s[18:19], s[0:1], 0x28
	s_lshl_b64 s[16:17], s[10:11], 3
	s_add_u32 s2, s14, s16
	s_addc_u32 s3, s15, s17
                                        ; implicit-def: $vgpr82
                                        ; implicit-def: $vgpr92
                                        ; implicit-def: $vgpr90
                                        ; implicit-def: $vgpr88
                                        ; implicit-def: $vgpr86
	s_waitcnt lgkmcnt(0)
	v_cmp_gt_u64_e64 s[0:1], s[18:19], v[84:85]
	v_cmp_le_u64_e32 vcc, s[18:19], v[84:85]
	s_and_saveexec_b64 s[10:11], vcc
	s_xor_b64 s[10:11], exec, s[10:11]
; %bb.10:
	s_mov_b32 s14, 0x5050506
	v_mul_hi_u32 v1, v0, s14
	v_mul_u32_u24_e32 v1, 51, v1
	v_sub_u32_e32 v82, v0, v1
	v_add_u32_e32 v92, 51, v82
	v_add_u32_e32 v90, 0x66, v82
	;; [unrolled: 1-line block ×4, first 2 shown]
                                        ; implicit-def: $vgpr0
                                        ; implicit-def: $vgpr2_vgpr3
; %bb.11:
	s_andn2_saveexec_b64 s[10:11], s[10:11]
	s_cbranch_execz .LBB0_13
; %bb.12:
	s_add_u32 s12, s12, s16
	s_addc_u32 s13, s13, s17
	s_load_dwordx2 s[12:13], s[12:13], 0x0
	s_mov_b32 s14, 0x5050506
	v_mov_b32_e32 v57, 0
	s_waitcnt lgkmcnt(0)
	v_mul_lo_u32 v1, s13, v84
	v_mul_lo_u32 v6, s12, v85
	v_mad_u64_u32 v[4:5], s[12:13], s12, v84, 0
	v_add3_u32 v5, v5, v6, v1
	v_mul_hi_u32 v1, v0, s14
	v_mul_u32_u24_e32 v1, 51, v1
	v_sub_u32_e32 v82, v0, v1
	v_lshl_add_u64 v[0:1], v[4:5], 4, s[4:5]
	v_lshl_add_u64 v[0:1], v[2:3], 4, v[0:1]
	v_lshlrev_b32_e32 v56, 4, v82
	v_lshl_add_u64 v[40:41], v[0:1], 0, v[56:57]
	s_movk_i32 s4, 0x1000
	v_add_co_u32_e32 v58, vcc, s4, v40
	global_load_dwordx4 v[0:3], v[40:41], off
	global_load_dwordx4 v[4:7], v[40:41], off offset:816
	global_load_dwordx4 v[8:11], v[40:41], off offset:1632
	;; [unrolled: 1-line block ×5, first 2 shown]
	v_addc_co_u32_e32 v59, vcc, 0, v41, vcc
	v_add_co_u32_e32 v60, vcc, 0x2000, v40
	global_load_dwordx4 v[24:27], v[58:59], off offset:800
	global_load_dwordx4 v[28:31], v[58:59], off offset:1616
	;; [unrolled: 1-line block ×4, first 2 shown]
	v_addc_co_u32_e32 v61, vcc, 0, v41, vcc
	global_load_dwordx4 v[40:43], v[58:59], off offset:4064
	global_load_dwordx4 v[44:47], v[60:61], off offset:784
	global_load_dwordx4 v[48:51], v[60:61], off offset:1600
	global_load_dwordx4 v[52:55], v[60:61], off offset:2416
	v_add_u32_e32 v92, 51, v82
	v_add_u32_e32 v90, 0x66, v82
	;; [unrolled: 1-line block ×5, first 2 shown]
	s_waitcnt vmcnt(13)
	ds_write_b128 v56, v[0:3]
	s_waitcnt vmcnt(12)
	ds_write_b128 v56, v[4:7] offset:816
	s_waitcnt vmcnt(11)
	ds_write_b128 v56, v[8:11] offset:1632
	s_waitcnt vmcnt(10)
	ds_write_b128 v56, v[12:15] offset:2448
	s_waitcnt vmcnt(9)
	ds_write_b128 v56, v[16:19] offset:3264
	s_waitcnt vmcnt(8)
	ds_write_b128 v56, v[20:23] offset:4080
	s_waitcnt vmcnt(7)
	ds_write_b128 v56, v[24:27] offset:4896
	s_waitcnt vmcnt(6)
	ds_write_b128 v56, v[28:31] offset:5712
	s_waitcnt vmcnt(5)
	ds_write_b128 v56, v[32:35] offset:6528
	s_waitcnt vmcnt(4)
	ds_write_b128 v56, v[36:39] offset:7344
	s_waitcnt vmcnt(3)
	ds_write_b128 v56, v[40:43] offset:8160
	s_waitcnt vmcnt(2)
	ds_write_b128 v56, v[44:47] offset:8976
	s_waitcnt vmcnt(1)
	ds_write_b128 v56, v[48:51] offset:9792
	s_waitcnt vmcnt(0)
	ds_write_b128 v56, v[52:55] offset:10608
.LBB0_13:
	s_or_b64 exec, exec, s[10:11]
	v_lshl_add_u32 v198, v82, 4, 0
	s_load_dwordx2 s[2:3], s[2:3], 0x0
	s_waitcnt lgkmcnt(0)
	; wave barrier
	s_waitcnt lgkmcnt(0)
	ds_read_b128 v[12:15], v198 offset:3808
	ds_read_b128 v[4:7], v198
	ds_read_b128 v[8:11], v198 offset:816
	ds_read_b128 v[20:23], v198 offset:7616
	;; [unrolled: 1-line block ×8, first 2 shown]
	s_waitcnt lgkmcnt(8)
	v_add_f64 v[0:1], v[4:5], v[12:13]
	s_waitcnt lgkmcnt(6)
	v_add_f64 v[56:57], v[12:13], v[20:21]
	v_add_f64 v[58:59], v[14:15], -v[22:23]
	v_add_f64 v[2:3], v[6:7], v[14:15]
	v_add_f64 v[60:61], v[14:15], v[22:23]
	v_add_f64 v[62:63], v[12:13], -v[20:21]
	s_waitcnt lgkmcnt(4)
	v_add_f64 v[12:13], v[8:9], v[32:33]
	v_add_f64 v[64:65], v[32:33], v[28:29]
	v_add_f64 v[66:67], v[34:35], -v[30:31]
	v_add_f64 v[14:15], v[10:11], v[34:35]
	v_add_f64 v[68:69], v[34:35], v[30:31]
	v_add_f64 v[70:71], v[32:33], -v[28:29]
	ds_read_b128 v[32:35], v198 offset:2448
	ds_read_b128 v[44:47], v198 offset:6256
	v_add_f64 v[0:1], v[0:1], v[20:21]
	v_add_f64 v[2:3], v[2:3], v[22:23]
	;; [unrolled: 1-line block ×4, first 2 shown]
	s_waitcnt lgkmcnt(3)
	v_add_f64 v[20:21], v[24:25], v[36:37]
	ds_read_b128 v[28:31], v198 offset:10064
	v_add_f64 v[22:23], v[26:27], v[38:39]
	s_waitcnt lgkmcnt(3)
	v_add_f64 v[72:73], v[36:37], v[40:41]
	v_add_f64 v[74:75], v[38:39], -v[42:43]
	v_add_f64 v[76:77], v[38:39], v[42:43]
	v_add_f64 v[78:79], v[36:37], -v[40:41]
	ds_read_b128 v[36:39], v198 offset:7072
	ds_read_b128 v[52:55], v198 offset:10880
	v_add_f64 v[20:21], v[20:21], v[40:41]
	s_waitcnt lgkmcnt(3)
	v_add_f64 v[40:41], v[32:33], v[44:45]
	s_waitcnt lgkmcnt(2)
	v_add_f64 v[40:41], v[40:41], v[28:29]
	v_add_f64 v[94:95], v[44:45], v[28:29]
	v_add_f64 v[100:101], v[44:45], -v[28:29]
	s_waitcnt lgkmcnt(1)
	v_add_f64 v[28:29], v[16:17], v[36:37]
	s_mov_b32 s4, 0xe8584caa
	v_add_f64 v[22:23], v[22:23], v[42:43]
	v_add_f64 v[42:43], v[34:35], v[46:47]
	s_waitcnt lgkmcnt(0)
	v_add_f64 v[48:49], v[28:29], v[52:53]
	v_add_f64 v[28:29], v[18:19], v[38:39]
	v_fmac_f64_e32 v[4:5], -0.5, v[56:57]
	s_mov_b32 s5, 0xbfebb67a
	s_mov_b32 s11, 0x3febb67a
	;; [unrolled: 1-line block ×3, first 2 shown]
	v_fmac_f64_e32 v[6:7], -0.5, v[60:61]
	v_lshl_add_u32 v60, v82, 5, v198
	v_add_f64 v[42:43], v[42:43], v[30:31]
	v_add_f64 v[96:97], v[46:47], -v[30:31]
	v_add_f64 v[98:99], v[46:47], v[30:31]
	v_add_f64 v[50:51], v[28:29], v[54:55]
	;; [unrolled: 1-line block ×4, first 2 shown]
	v_fma_f64 v[28:29], s[4:5], v[58:59], v[4:5]
	v_fmac_f64_e32 v[4:5], s[10:11], v[58:59]
	v_fma_f64 v[30:31], s[10:11], v[62:63], v[6:7]
	v_fmac_f64_e32 v[6:7], s[4:5], v[62:63]
	v_fmac_f64_e32 v[8:9], -0.5, v[64:65]
	v_fmac_f64_e32 v[10:11], -0.5, v[68:69]
	s_waitcnt lgkmcnt(0)
	; wave barrier
	ds_write_b128 v60, v[0:3]
	ds_write_b128 v60, v[28:31] offset:16
	ds_write_b128 v60, v[4:7] offset:32
	v_mad_i32_i24 v60, v92, 48, 0
	v_add_f64 v[104:105], v[38:39], -v[54:55]
	v_add_f64 v[108:109], v[36:37], -v[52:53]
	v_fma_f64 v[36:37], s[4:5], v[66:67], v[8:9]
	v_fmac_f64_e32 v[8:9], s[10:11], v[66:67]
	v_fma_f64 v[38:39], s[10:11], v[70:71], v[10:11]
	v_fmac_f64_e32 v[10:11], s[4:5], v[70:71]
	v_fmac_f64_e32 v[24:25], -0.5, v[72:73]
	v_fmac_f64_e32 v[26:27], -0.5, v[76:77]
	;; [unrolled: 1-line block ×6, first 2 shown]
	ds_write_b128 v60, v[12:15]
	ds_write_b128 v60, v[36:39] offset:16
	ds_write_b128 v60, v[8:11] offset:32
	v_mad_i32_i24 v60, v90, 48, 0
	v_fma_f64 v[44:45], s[4:5], v[74:75], v[24:25]
	v_fmac_f64_e32 v[24:25], s[10:11], v[74:75]
	v_fma_f64 v[46:47], s[10:11], v[78:79], v[26:27]
	v_fmac_f64_e32 v[26:27], s[4:5], v[78:79]
	;; [unrolled: 2-line block ×6, first 2 shown]
	ds_write_b128 v60, v[20:23]
	ds_write_b128 v60, v[44:47] offset:16
	ds_write_b128 v60, v[24:27] offset:32
	v_mad_i32_i24 v60, v88, 48, 0
	v_cmp_gt_u32_e32 vcc, 34, v82
	ds_write_b128 v60, v[40:43]
	ds_write_b128 v60, v[52:55] offset:16
	ds_write_b128 v60, v[32:35] offset:32
	s_and_saveexec_b64 s[4:5], vcc
	s_cbranch_execz .LBB0_15
; %bb.14:
	v_mad_i32_i24 v60, v86, 48, 0
	ds_write_b128 v60, v[48:51]
	ds_write_b128 v60, v[56:59] offset:16
	ds_write_b128 v60, v[16:19] offset:32
.LBB0_15:
	s_or_b64 exec, exec, s[4:5]
	v_cmp_gt_u32_e32 vcc, 42, v82
	s_waitcnt lgkmcnt(0)
	; wave barrier
	s_waitcnt lgkmcnt(0)
                                        ; implicit-def: $vgpr62_vgpr63
                                        ; implicit-def: $vgpr66_vgpr67
	s_and_saveexec_b64 s[4:5], vcc
	s_cbranch_execz .LBB0_17
; %bb.16:
	ds_read_b128 v[0:3], v198
	ds_read_b128 v[28:31], v198 offset:672
	ds_read_b128 v[4:7], v198 offset:1344
	;; [unrolled: 1-line block ×16, first 2 shown]
.LBB0_17:
	s_or_b64 exec, exec, s[4:5]
	s_waitcnt lgkmcnt(0)
	; wave barrier
	s_waitcnt lgkmcnt(0)
	s_and_saveexec_b64 s[4:5], vcc
	s_cbranch_execz .LBB0_19
; %bb.18:
	s_movk_i32 s10, 0xab
	v_mul_lo_u16_sdwa v68, v82, s10 dst_sel:DWORD dst_unused:UNUSED_PAD src0_sel:BYTE_0 src1_sel:DWORD
	v_lshrrev_b16_e32 v83, 9, v68
	v_mul_lo_u16_e32 v68, 3, v83
	v_sub_u16_e32 v87, v82, v68
	v_mov_b32_e32 v68, 8
	v_lshlrev_b32_sdwa v89, v68, v87 dst_sel:DWORD dst_unused:UNUSED_PAD src0_sel:DWORD src1_sel:BYTE_0
	global_load_dwordx4 v[68:71], v89, s[8:9] offset:112
	global_load_dwordx4 v[76:79], v89, s[8:9] offset:128
	;; [unrolled: 1-line block ×14, first 2 shown]
	global_load_dwordx4 v[164:167], v89, s[8:9]
	global_load_dwordx4 v[168:171], v89, s[8:9] offset:240
	s_mov_b32 s24, 0xacd6c6b4
	s_mov_b32 s28, 0x5d8e7cdc
	;; [unrolled: 1-line block ×46, first 2 shown]
	s_waitcnt vmcnt(15)
	v_mul_f64 v[94:95], v[26:27], v[70:71]
	v_mul_f64 v[118:119], v[24:25], v[70:71]
	s_waitcnt vmcnt(14)
	v_mul_f64 v[70:71], v[42:43], v[78:79]
	v_mul_f64 v[172:173], v[40:41], v[78:79]
	;; [unrolled: 3-line block ×4, first 2 shown]
	s_waitcnt vmcnt(11)
	v_mul_f64 v[98:99], v[22:23], v[126:127]
	s_waitcnt vmcnt(6)
	v_mul_f64 v[102:103], v[58:59], v[146:147]
	v_mul_f64 v[126:127], v[20:21], v[126:127]
	;; [unrolled: 1-line block ×5, first 2 shown]
	s_waitcnt vmcnt(3)
	v_mul_f64 v[114:115], v[6:7], v[158:159]
	v_mul_f64 v[158:159], v[4:5], v[158:159]
	s_waitcnt vmcnt(1)
	v_mul_f64 v[116:117], v[30:31], v[166:167]
	v_fmac_f64_e32 v[102:103], v[56:57], v[144:145]
	s_waitcnt vmcnt(0)
	v_mul_f64 v[56:57], v[62:63], v[170:171]
	v_mul_f64 v[112:113], v[66:67], v[162:163]
	;; [unrolled: 1-line block ×4, first 2 shown]
	v_fmac_f64_e32 v[94:95], v[24:25], v[68:69]
	v_fma_f64 v[68:69], v[26:27], v[68:69], -v[118:119]
	v_fmac_f64_e32 v[78:79], v[44:45], v[72:73]
	v_fma_f64 v[118:119], v[46:47], v[72:73], -v[174:175]
	v_fma_f64 v[72:73], v[54:55], v[120:121], -v[122:123]
	;; [unrolled: 1-line block ×5, first 2 shown]
	v_fmac_f64_e32 v[116:117], v[28:29], v[164:165]
	v_fmac_f64_e32 v[56:57], v[60:61], v[168:169]
	v_mul_f64 v[6:7], v[60:61], v[170:171]
	v_mul_f64 v[96:97], v[34:35], v[130:131]
	;; [unrolled: 1-line block ×6, first 2 shown]
	v_fmac_f64_e32 v[114:115], v[4:5], v[156:157]
	v_fmac_f64_e32 v[112:113], v[64:65], v[160:161]
	v_fma_f64 v[64:65], v[66:67], v[160:161], -v[162:163]
	v_fma_f64 v[66:67], v[30:31], v[164:165], -v[166:167]
	;; [unrolled: 1-line block ×3, first 2 shown]
	v_add_f64 v[160:161], v[116:117], -v[56:57]
	v_mul_f64 v[100:101], v[50:51], v[138:139]
	v_mul_f64 v[138:139], v[48:49], v[138:139]
	;; [unrolled: 1-line block ×4, first 2 shown]
	v_fmac_f64_e32 v[74:75], v[52:53], v[120:121]
	v_fmac_f64_e32 v[96:97], v[32:33], v[128:129]
	v_fma_f64 v[120:121], v[34:35], v[128:129], -v[130:131]
	v_fmac_f64_e32 v[110:111], v[12:13], v[148:149]
	v_fmac_f64_e32 v[106:107], v[16:17], v[152:153]
	v_fma_f64 v[128:129], v[18:19], v[152:153], -v[154:155]
	v_add_f64 v[154:155], v[114:115], -v[112:113]
	v_mul_f64 v[12:13], v[160:161], s[24:25]
	v_add_f64 v[62:63], v[66:67], v[60:61]
	v_mul_f64 v[142:143], v[36:37], v[142:143]
	v_fmac_f64_e32 v[98:99], v[20:21], v[124:125]
	v_fmac_f64_e32 v[104:105], v[8:9], v[132:133]
	;; [unrolled: 1-line block ×3, first 2 shown]
	v_fma_f64 v[124:125], v[50:51], v[136:137], -v[138:139]
	v_fmac_f64_e32 v[108:109], v[36:37], v[140:141]
	v_fma_f64 v[132:133], v[14:15], v[148:149], -v[150:151]
	v_add_f64 v[150:151], v[110:111], -v[106:107]
	v_mul_f64 v[10:11], v[154:155], s[28:29]
	v_add_f64 v[136:137], v[134:135], v[64:65]
	v_fma_f64 v[6:7], s[14:15], v[62:63], v[12:13]
	v_fma_f64 v[130:131], v[38:39], v[140:141], -v[142:143]
	v_fma_f64 v[58:59], v[58:59], v[144:145], -v[146:147]
	v_mul_f64 v[8:9], v[150:151], s[10:11]
	v_fma_f64 v[4:5], s[12:13], v[136:137], v[10:11]
	v_add_f64 v[6:7], v[2:3], v[6:7]
	v_add_f64 v[138:139], v[132:133], v[128:129]
	v_add_f64 v[164:165], v[108:109], -v[102:103]
	v_add_f64 v[4:5], v[4:5], v[6:7]
	v_fma_f64 v[6:7], s[18:19], v[138:139], v[8:9]
	v_mul_f64 v[14:15], v[164:165], s[44:45]
	v_add_f64 v[140:141], v[130:131], v[58:59]
	v_add_f64 v[168:169], v[104:105], -v[100:101]
	v_add_f64 v[4:5], v[6:7], v[4:5]
	v_fma_f64 v[6:7], s[16:17], v[140:141], v[14:15]
	v_mul_f64 v[16:17], v[168:169], s[30:31]
	;; [unrolled: 5-line block ×4, first 2 shown]
	v_add_f64 v[146:147], v[118:119], v[72:73]
	v_add_f64 v[178:179], v[66:67], -v[60:61]
	v_add_f64 v[4:5], v[6:7], v[4:5]
	v_fma_f64 v[6:7], s[26:27], v[146:147], v[20:21]
	v_add_f64 v[148:149], v[116:117], v[56:57]
	v_mul_f64 v[22:23], v[178:179], s[24:25]
	v_add_f64 v[184:185], v[134:135], -v[64:65]
	v_add_f64 v[4:5], v[6:7], v[4:5]
	v_fma_f64 v[6:7], v[148:149], s[14:15], -v[22:23]
	v_add_f64 v[152:153], v[114:115], v[112:113]
	v_mul_f64 v[24:25], v[184:185], s[28:29]
	v_fma_f64 v[12:13], v[62:63], s[14:15], -v[12:13]
	v_add_f64 v[6:7], v[0:1], v[6:7]
	v_fma_f64 v[26:27], v[152:153], s[12:13], -v[24:25]
	v_add_f64 v[180:181], v[132:133], -v[128:129]
	v_fma_f64 v[10:11], v[136:137], s[12:13], -v[10:11]
	v_add_f64 v[12:13], v[2:3], v[12:13]
	v_add_f64 v[6:7], v[26:27], v[6:7]
	;; [unrolled: 1-line block ×3, first 2 shown]
	v_mul_f64 v[26:27], v[180:181], s[10:11]
	v_add_f64 v[10:11], v[10:11], v[12:13]
	v_fma_f64 v[8:9], v[138:139], s[18:19], -v[8:9]
	v_fma_f64 v[28:29], v[156:157], s[18:19], -v[26:27]
	v_add_f64 v[182:183], v[130:131], -v[58:59]
	v_add_f64 v[8:9], v[8:9], v[10:11]
	v_fma_f64 v[10:11], v[140:141], s[16:17], -v[14:15]
	v_add_f64 v[6:7], v[28:29], v[6:7]
	v_add_f64 v[158:159], v[108:109], v[102:103]
	v_mul_f64 v[28:29], v[182:183], s[44:45]
	v_add_f64 v[8:9], v[10:11], v[8:9]
	v_fma_f64 v[10:11], v[142:143], s[20:21], -v[16:17]
	v_fma_f64 v[30:31], v[158:159], s[16:17], -v[28:29]
	v_add_f64 v[186:187], v[126:127], -v[124:125]
	v_add_f64 v[8:9], v[10:11], v[8:9]
	v_fma_f64 v[10:11], v[144:145], s[22:23], -v[18:19]
	v_add_f64 v[6:7], v[30:31], v[6:7]
	v_add_f64 v[162:163], v[104:105], v[100:101]
	v_mul_f64 v[30:31], v[186:187], s[30:31]
	v_add_f64 v[8:9], v[10:11], v[8:9]
	v_fma_f64 v[10:11], v[146:147], s[26:27], -v[20:21]
	v_fmac_f64_e32 v[22:23], s[14:15], v[148:149]
	v_fma_f64 v[32:33], v[162:163], s[20:21], -v[30:31]
	v_add_f64 v[190:191], v[122:123], -v[120:121]
	v_add_f64 v[8:9], v[10:11], v[8:9]
	v_fmac_f64_e32 v[24:25], s[12:13], v[152:153]
	v_add_f64 v[10:11], v[0:1], v[22:23]
	v_add_f64 v[6:7], v[32:33], v[6:7]
	;; [unrolled: 1-line block ×3, first 2 shown]
	v_mul_f64 v[32:33], v[190:191], s[38:39]
	v_add_f64 v[10:11], v[24:25], v[10:11]
	v_fmac_f64_e32 v[26:27], s[18:19], v[156:157]
	v_fmac_f64_e32 v[70:71], v[40:41], v[76:77]
	v_fma_f64 v[34:35], v[166:167], s[22:23], -v[32:33]
	v_add_f64 v[192:193], v[118:119], -v[72:73]
	v_add_f64 v[10:11], v[26:27], v[10:11]
	v_fmac_f64_e32 v[28:29], s[16:17], v[158:159]
	v_fma_f64 v[76:77], v[42:43], v[76:77], -v[172:173]
	v_add_f64 v[6:7], v[34:35], v[6:7]
	v_add_f64 v[172:173], v[78:79], v[74:75]
	v_mul_f64 v[34:35], v[192:193], s[34:35]
	v_add_f64 v[194:195], v[94:95], -v[70:71]
	v_add_f64 v[10:11], v[28:29], v[10:11]
	v_fmac_f64_e32 v[30:31], s[20:21], v[162:163]
	v_fma_f64 v[36:37], v[172:173], s[26:27], -v[34:35]
	v_mul_f64 v[38:39], v[194:195], s[56:57]
	v_add_f64 v[188:189], v[68:69], v[76:77]
	v_add_f64 v[196:197], v[68:69], -v[76:77]
	v_add_f64 v[10:11], v[30:31], v[10:11]
	v_fmac_f64_e32 v[32:33], s[22:23], v[166:167]
	v_add_f64 v[36:37], v[36:37], v[6:7]
	v_fma_f64 v[6:7], s[36:37], v[188:189], v[38:39]
	v_add_f64 v[176:177], v[94:95], v[70:71]
	v_mul_f64 v[40:41], v[196:197], s[56:57]
	v_add_f64 v[10:11], v[32:33], v[10:11]
	v_fmac_f64_e32 v[34:35], s[26:27], v[172:173]
	v_add_f64 v[6:7], v[6:7], v[4:5]
	v_fma_f64 v[4:5], v[176:177], s[36:37], -v[40:41]
	v_add_f64 v[12:13], v[34:35], v[10:11]
	v_fma_f64 v[10:11], v[188:189], s[36:37], -v[38:39]
	v_fmac_f64_e32 v[40:41], s[36:37], v[176:177]
	v_mul_f64 v[16:17], v[160:161], s[10:11]
	v_add_f64 v[10:11], v[10:11], v[8:9]
	v_add_f64 v[8:9], v[40:41], v[12:13]
	v_fma_f64 v[12:13], s[18:19], v[62:63], v[16:17]
	v_mul_f64 v[18:19], v[154:155], s[38:39]
	v_add_f64 v[12:13], v[2:3], v[12:13]
	v_fma_f64 v[14:15], s[22:23], v[136:137], v[18:19]
	v_mul_f64 v[20:21], v[150:151], s[40:41]
	;; [unrolled: 3-line block ×7, first 2 shown]
	v_add_f64 v[12:13], v[14:15], v[12:13]
	v_fma_f64 v[14:15], v[148:149], s[18:19], -v[30:31]
	v_mul_f64 v[32:33], v[184:185], s[38:39]
	v_fma_f64 v[16:17], v[62:63], s[18:19], -v[16:17]
	v_add_f64 v[14:15], v[0:1], v[14:15]
	v_fma_f64 v[34:35], v[152:153], s[22:23], -v[32:33]
	v_fma_f64 v[18:19], v[136:137], s[22:23], -v[18:19]
	v_add_f64 v[16:17], v[2:3], v[16:17]
	v_add_f64 v[14:15], v[34:35], v[14:15]
	v_mul_f64 v[34:35], v[180:181], s[40:41]
	v_add_f64 v[16:17], v[18:19], v[16:17]
	v_fma_f64 v[18:19], v[138:139], s[36:37], -v[20:21]
	v_add_f64 v[4:5], v[4:5], v[36:37]
	v_fma_f64 v[36:37], v[156:157], s[36:37], -v[34:35]
	;; [unrolled: 2-line block ×3, first 2 shown]
	v_add_f64 v[14:15], v[36:37], v[14:15]
	v_mul_f64 v[36:37], v[182:183], s[52:53]
	v_add_f64 v[16:17], v[18:19], v[16:17]
	v_fma_f64 v[18:19], v[142:143], s[12:13], -v[24:25]
	v_fma_f64 v[38:39], v[158:159], s[20:21], -v[36:37]
	v_add_f64 v[16:17], v[18:19], v[16:17]
	v_fma_f64 v[18:19], v[144:145], s[14:15], -v[26:27]
	v_add_f64 v[14:15], v[38:39], v[14:15]
	v_mul_f64 v[38:39], v[186:187], s[42:43]
	v_add_f64 v[16:17], v[18:19], v[16:17]
	v_fma_f64 v[18:19], v[146:147], s[16:17], -v[28:29]
	v_fmac_f64_e32 v[30:31], s[18:19], v[148:149]
	v_fma_f64 v[40:41], v[162:163], s[12:13], -v[38:39]
	v_add_f64 v[16:17], v[18:19], v[16:17]
	v_fmac_f64_e32 v[32:33], s[22:23], v[152:153]
	v_add_f64 v[18:19], v[0:1], v[30:31]
	v_add_f64 v[14:15], v[40:41], v[14:15]
	v_mul_f64 v[40:41], v[190:191], s[24:25]
	v_add_f64 v[18:19], v[32:33], v[18:19]
	v_fmac_f64_e32 v[34:35], s[36:37], v[156:157]
	v_fma_f64 v[42:43], v[166:167], s[14:15], -v[40:41]
	v_add_f64 v[18:19], v[34:35], v[18:19]
	v_fmac_f64_e32 v[36:37], s[20:21], v[158:159]
	v_add_f64 v[14:15], v[42:43], v[14:15]
	v_mul_f64 v[42:43], v[192:193], s[44:45]
	v_add_f64 v[18:19], v[36:37], v[18:19]
	v_fmac_f64_e32 v[38:39], s[12:13], v[162:163]
	v_fma_f64 v[44:45], v[172:173], s[16:17], -v[42:43]
	v_mul_f64 v[46:47], v[194:195], s[34:35]
	v_add_f64 v[18:19], v[38:39], v[18:19]
	v_fmac_f64_e32 v[40:41], s[14:15], v[166:167]
	v_add_f64 v[44:45], v[44:45], v[14:15]
	v_fma_f64 v[14:15], s[26:27], v[188:189], v[46:47]
	v_mul_f64 v[48:49], v[196:197], s[34:35]
	v_add_f64 v[18:19], v[40:41], v[18:19]
	v_fmac_f64_e32 v[42:43], s[16:17], v[172:173]
	v_add_f64 v[14:15], v[14:15], v[12:13]
	v_fma_f64 v[12:13], v[176:177], s[26:27], -v[48:49]
	v_add_f64 v[20:21], v[42:43], v[18:19]
	v_fma_f64 v[18:19], v[188:189], s[26:27], -v[46:47]
	v_fmac_f64_e32 v[48:49], s[26:27], v[176:177]
	v_mul_f64 v[24:25], v[160:161], s[30:31]
	v_add_f64 v[18:19], v[18:19], v[16:17]
	v_add_f64 v[16:17], v[48:49], v[20:21]
	v_fma_f64 v[20:21], s[20:21], v[62:63], v[24:25]
	v_mul_f64 v[26:27], v[154:155], s[48:49]
	v_add_f64 v[20:21], v[2:3], v[20:21]
	v_fma_f64 v[22:23], s[26:27], v[136:137], v[26:27]
	v_mul_f64 v[28:29], v[150:151], s[42:43]
	;; [unrolled: 3-line block ×7, first 2 shown]
	v_add_f64 v[20:21], v[22:23], v[20:21]
	v_fma_f64 v[22:23], v[148:149], s[20:21], -v[38:39]
	v_mul_f64 v[40:41], v[184:185], s[48:49]
	v_fma_f64 v[24:25], v[62:63], s[20:21], -v[24:25]
	v_add_f64 v[22:23], v[0:1], v[22:23]
	v_fma_f64 v[42:43], v[152:153], s[26:27], -v[40:41]
	v_fma_f64 v[26:27], v[136:137], s[26:27], -v[26:27]
	v_add_f64 v[24:25], v[2:3], v[24:25]
	v_add_f64 v[22:23], v[42:43], v[22:23]
	v_mul_f64 v[42:43], v[180:181], s[42:43]
	v_add_f64 v[24:25], v[26:27], v[24:25]
	v_fma_f64 v[26:27], v[138:139], s[12:13], -v[28:29]
	v_add_f64 v[12:13], v[12:13], v[44:45]
	v_fma_f64 v[44:45], v[156:157], s[12:13], -v[42:43]
	;; [unrolled: 2-line block ×3, first 2 shown]
	v_add_f64 v[22:23], v[44:45], v[22:23]
	v_mul_f64 v[44:45], v[182:183], s[10:11]
	v_add_f64 v[24:25], v[26:27], v[24:25]
	v_fma_f64 v[26:27], v[142:143], s[36:37], -v[32:33]
	v_fma_f64 v[46:47], v[158:159], s[18:19], -v[44:45]
	v_add_f64 v[24:25], v[26:27], v[24:25]
	v_fma_f64 v[26:27], v[144:145], s[16:17], -v[34:35]
	v_add_f64 v[22:23], v[46:47], v[22:23]
	v_mul_f64 v[46:47], v[186:187], s[56:57]
	v_add_f64 v[24:25], v[26:27], v[24:25]
	v_fma_f64 v[26:27], v[146:147], s[14:15], -v[36:37]
	v_fmac_f64_e32 v[38:39], s[20:21], v[148:149]
	v_fma_f64 v[48:49], v[162:163], s[36:37], -v[46:47]
	v_add_f64 v[24:25], v[26:27], v[24:25]
	v_fmac_f64_e32 v[40:41], s[26:27], v[152:153]
	v_add_f64 v[26:27], v[0:1], v[38:39]
	v_add_f64 v[22:23], v[48:49], v[22:23]
	v_mul_f64 v[48:49], v[190:191], s[46:47]
	v_add_f64 v[26:27], v[40:41], v[26:27]
	v_fmac_f64_e32 v[42:43], s[12:13], v[156:157]
	v_fma_f64 v[50:51], v[166:167], s[16:17], -v[48:49]
	v_add_f64 v[26:27], v[42:43], v[26:27]
	v_fmac_f64_e32 v[44:45], s[18:19], v[158:159]
	v_add_f64 v[22:23], v[50:51], v[22:23]
	v_mul_f64 v[50:51], v[192:193], s[24:25]
	v_add_f64 v[26:27], v[44:45], v[26:27]
	v_fmac_f64_e32 v[46:47], s[36:37], v[162:163]
	v_fma_f64 v[52:53], v[172:173], s[14:15], -v[50:51]
	v_mul_f64 v[54:55], v[194:195], s[38:39]
	v_add_f64 v[26:27], v[46:47], v[26:27]
	v_fmac_f64_e32 v[48:49], s[16:17], v[166:167]
	v_add_f64 v[52:53], v[52:53], v[22:23]
	v_fma_f64 v[22:23], s[22:23], v[188:189], v[54:55]
	v_mul_f64 v[200:201], v[196:197], s[38:39]
	v_add_f64 v[26:27], v[48:49], v[26:27]
	v_fmac_f64_e32 v[50:51], s[14:15], v[172:173]
	v_add_f64 v[22:23], v[22:23], v[20:21]
	v_fma_f64 v[20:21], v[176:177], s[22:23], -v[200:201]
	v_add_f64 v[28:29], v[50:51], v[26:27]
	v_fma_f64 v[26:27], v[188:189], s[22:23], -v[54:55]
	v_fmac_f64_e32 v[200:201], s[22:23], v[176:177]
	v_mul_f64 v[32:33], v[160:161], s[34:35]
	v_add_f64 v[26:27], v[26:27], v[24:25]
	v_add_f64 v[24:25], v[200:201], v[28:29]
	v_fma_f64 v[28:29], s[26:27], v[62:63], v[32:33]
	v_mul_f64 v[34:35], v[154:155], s[54:55]
	v_add_f64 v[28:29], v[2:3], v[28:29]
	v_fma_f64 v[30:31], s[18:19], v[136:137], v[34:35]
	v_mul_f64 v[36:37], v[150:151], s[44:45]
	;; [unrolled: 3-line block ×7, first 2 shown]
	v_add_f64 v[28:29], v[30:31], v[28:29]
	v_fma_f64 v[30:31], v[148:149], s[26:27], -v[46:47]
	v_mul_f64 v[48:49], v[184:185], s[54:55]
	v_fma_f64 v[32:33], v[62:63], s[26:27], -v[32:33]
	v_add_f64 v[30:31], v[0:1], v[30:31]
	v_fma_f64 v[50:51], v[152:153], s[18:19], -v[48:49]
	v_fma_f64 v[34:35], v[136:137], s[18:19], -v[34:35]
	v_add_f64 v[32:33], v[2:3], v[32:33]
	v_add_f64 v[30:31], v[50:51], v[30:31]
	v_mul_f64 v[50:51], v[180:181], s[44:45]
	v_add_f64 v[32:33], v[34:35], v[32:33]
	v_fma_f64 v[34:35], v[138:139], s[16:17], -v[36:37]
	v_add_f64 v[20:21], v[20:21], v[52:53]
	v_fma_f64 v[52:53], v[156:157], s[16:17], -v[50:51]
	;; [unrolled: 2-line block ×3, first 2 shown]
	v_add_f64 v[30:31], v[52:53], v[30:31]
	v_mul_f64 v[52:53], v[182:183], s[50:51]
	v_add_f64 v[32:33], v[34:35], v[32:33]
	v_fma_f64 v[34:35], v[142:143], s[14:15], -v[40:41]
	v_fma_f64 v[54:55], v[158:159], s[22:23], -v[52:53]
	v_add_f64 v[32:33], v[34:35], v[32:33]
	v_fma_f64 v[34:35], v[144:145], s[36:37], -v[42:43]
	v_add_f64 v[30:31], v[54:55], v[30:31]
	v_mul_f64 v[54:55], v[186:187], s[24:25]
	v_add_f64 v[32:33], v[34:35], v[32:33]
	v_fma_f64 v[34:35], v[146:147], s[12:13], -v[44:45]
	v_fmac_f64_e32 v[46:47], s[26:27], v[148:149]
	v_fma_f64 v[200:201], v[162:163], s[14:15], -v[54:55]
	v_add_f64 v[32:33], v[34:35], v[32:33]
	v_fmac_f64_e32 v[48:49], s[18:19], v[152:153]
	v_add_f64 v[34:35], v[0:1], v[46:47]
	v_add_f64 v[30:31], v[200:201], v[30:31]
	v_mul_f64 v[200:201], v[190:191], s[56:57]
	v_add_f64 v[34:35], v[48:49], v[34:35]
	v_fmac_f64_e32 v[50:51], s[16:17], v[156:157]
	v_fma_f64 v[202:203], v[166:167], s[36:37], -v[200:201]
	v_add_f64 v[34:35], v[50:51], v[34:35]
	v_fmac_f64_e32 v[52:53], s[22:23], v[158:159]
	v_add_f64 v[30:31], v[202:203], v[30:31]
	v_mul_f64 v[202:203], v[192:193], s[42:43]
	v_add_f64 v[34:35], v[52:53], v[34:35]
	v_fmac_f64_e32 v[54:55], s[14:15], v[162:163]
	v_fma_f64 v[204:205], v[172:173], s[12:13], -v[202:203]
	v_mul_f64 v[206:207], v[194:195], s[30:31]
	v_add_f64 v[34:35], v[54:55], v[34:35]
	v_fmac_f64_e32 v[200:201], s[36:37], v[166:167]
	v_add_f64 v[204:205], v[204:205], v[30:31]
	v_fma_f64 v[30:31], s[20:21], v[188:189], v[206:207]
	v_mul_f64 v[208:209], v[196:197], s[30:31]
	v_add_f64 v[34:35], v[200:201], v[34:35]
	v_fmac_f64_e32 v[202:203], s[12:13], v[172:173]
	v_add_f64 v[30:31], v[30:31], v[28:29]
	v_fma_f64 v[28:29], v[176:177], s[20:21], -v[208:209]
	v_add_f64 v[36:37], v[202:203], v[34:35]
	v_fma_f64 v[34:35], v[188:189], s[20:21], -v[206:207]
	v_fmac_f64_e32 v[208:209], s[20:21], v[176:177]
	v_mul_f64 v[40:41], v[160:161], s[40:41]
	v_add_f64 v[34:35], v[34:35], v[32:33]
	v_add_f64 v[32:33], v[208:209], v[36:37]
	v_fma_f64 v[36:37], s[36:37], v[62:63], v[40:41]
	v_mul_f64 v[42:43], v[154:155], s[24:25]
	v_add_f64 v[36:37], v[2:3], v[36:37]
	v_fma_f64 v[38:39], s[14:15], v[136:137], v[42:43]
	v_mul_f64 v[44:45], v[150:151], s[48:49]
	;; [unrolled: 3-line block ×7, first 2 shown]
	v_add_f64 v[36:37], v[38:39], v[36:37]
	v_fma_f64 v[38:39], v[148:149], s[36:37], -v[54:55]
	v_mul_f64 v[200:201], v[184:185], s[24:25]
	v_fma_f64 v[40:41], v[62:63], s[36:37], -v[40:41]
	v_add_f64 v[38:39], v[0:1], v[38:39]
	v_fma_f64 v[202:203], v[152:153], s[14:15], -v[200:201]
	v_fma_f64 v[42:43], v[136:137], s[14:15], -v[42:43]
	v_add_f64 v[40:41], v[2:3], v[40:41]
	v_add_f64 v[38:39], v[202:203], v[38:39]
	v_mul_f64 v[202:203], v[180:181], s[48:49]
	v_add_f64 v[40:41], v[42:43], v[40:41]
	v_fma_f64 v[42:43], v[138:139], s[26:27], -v[44:45]
	v_add_f64 v[28:29], v[28:29], v[204:205]
	v_fma_f64 v[204:205], v[156:157], s[26:27], -v[202:203]
	;; [unrolled: 2-line block ×3, first 2 shown]
	v_add_f64 v[38:39], v[204:205], v[38:39]
	v_mul_f64 v[204:205], v[182:183], s[28:29]
	v_add_f64 v[40:41], v[42:43], v[40:41]
	v_fma_f64 v[42:43], v[142:143], s[22:23], -v[48:49]
	v_fma_f64 v[206:207], v[158:159], s[12:13], -v[204:205]
	v_add_f64 v[40:41], v[42:43], v[40:41]
	v_fma_f64 v[42:43], v[144:145], s[18:19], -v[50:51]
	v_add_f64 v[38:39], v[206:207], v[38:39]
	v_mul_f64 v[206:207], v[186:187], s[50:51]
	v_add_f64 v[40:41], v[42:43], v[40:41]
	v_fma_f64 v[42:43], v[146:147], s[20:21], -v[52:53]
	v_fmac_f64_e32 v[54:55], s[36:37], v[148:149]
	v_fma_f64 v[208:209], v[162:163], s[22:23], -v[206:207]
	v_add_f64 v[40:41], v[42:43], v[40:41]
	v_fmac_f64_e32 v[200:201], s[14:15], v[152:153]
	v_add_f64 v[42:43], v[0:1], v[54:55]
	v_add_f64 v[38:39], v[208:209], v[38:39]
	v_mul_f64 v[208:209], v[190:191], s[10:11]
	v_add_f64 v[42:43], v[200:201], v[42:43]
	v_fmac_f64_e32 v[202:203], s[26:27], v[156:157]
	v_fma_f64 v[210:211], v[166:167], s[18:19], -v[208:209]
	v_add_f64 v[42:43], v[202:203], v[42:43]
	v_fmac_f64_e32 v[204:205], s[12:13], v[158:159]
	v_add_f64 v[38:39], v[210:211], v[38:39]
	v_mul_f64 v[210:211], v[192:193], s[52:53]
	v_add_f64 v[42:43], v[204:205], v[42:43]
	v_fmac_f64_e32 v[206:207], s[22:23], v[162:163]
	v_fma_f64 v[212:213], v[172:173], s[20:21], -v[210:211]
	v_mul_f64 v[214:215], v[194:195], s[44:45]
	v_add_f64 v[42:43], v[206:207], v[42:43]
	v_fmac_f64_e32 v[208:209], s[18:19], v[166:167]
	v_add_f64 v[212:213], v[212:213], v[38:39]
	v_fma_f64 v[38:39], s[16:17], v[188:189], v[214:215]
	v_mul_f64 v[216:217], v[196:197], s[44:45]
	v_add_f64 v[42:43], v[208:209], v[42:43]
	v_fmac_f64_e32 v[210:211], s[20:21], v[172:173]
	v_add_f64 v[38:39], v[38:39], v[36:37]
	v_fma_f64 v[36:37], v[176:177], s[16:17], -v[216:217]
	v_add_f64 v[44:45], v[210:211], v[42:43]
	v_fma_f64 v[42:43], v[188:189], s[16:17], -v[214:215]
	v_fmac_f64_e32 v[216:217], s[16:17], v[176:177]
	v_mul_f64 v[48:49], v[160:161], s[50:51]
	v_add_f64 v[42:43], v[42:43], v[40:41]
	v_add_f64 v[40:41], v[216:217], v[44:45]
	v_fma_f64 v[44:45], s[22:23], v[62:63], v[48:49]
	v_mul_f64 v[50:51], v[154:155], s[30:31]
	s_mov_b32 s53, 0x3fc7851a
	s_mov_b32 s52, s24
	v_add_f64 v[44:45], v[2:3], v[44:45]
	v_fma_f64 v[46:47], s[20:21], v[136:137], v[50:51]
	v_mul_f64 v[52:53], v[150:151], s[52:53]
	v_add_f64 v[44:45], v[46:47], v[44:45]
	v_fma_f64 v[46:47], s[14:15], v[138:139], v[52:53]
	v_mul_f64 v[54:55], v[164:165], s[48:49]
	;; [unrolled: 3-line block ×6, first 2 shown]
	v_add_f64 v[44:45], v[46:47], v[44:45]
	v_fma_f64 v[46:47], v[148:149], s[22:23], -v[206:207]
	v_mul_f64 v[208:209], v[184:185], s[30:31]
	v_fma_f64 v[48:49], v[62:63], s[22:23], -v[48:49]
	v_add_f64 v[46:47], v[0:1], v[46:47]
	v_fma_f64 v[210:211], v[152:153], s[20:21], -v[208:209]
	v_fma_f64 v[50:51], v[136:137], s[20:21], -v[50:51]
	v_add_f64 v[48:49], v[2:3], v[48:49]
	v_add_f64 v[46:47], v[210:211], v[46:47]
	v_mul_f64 v[210:211], v[180:181], s[52:53]
	v_add_f64 v[48:49], v[50:51], v[48:49]
	v_fma_f64 v[50:51], v[138:139], s[14:15], -v[52:53]
	v_add_f64 v[36:37], v[36:37], v[212:213]
	v_fma_f64 v[212:213], v[156:157], s[14:15], -v[210:211]
	;; [unrolled: 2-line block ×3, first 2 shown]
	v_add_f64 v[46:47], v[212:213], v[46:47]
	v_mul_f64 v[212:213], v[182:183], s[48:49]
	v_add_f64 v[48:49], v[50:51], v[48:49]
	v_fma_f64 v[50:51], v[142:143], s[16:17], -v[200:201]
	v_fma_f64 v[214:215], v[158:159], s[26:27], -v[212:213]
	v_add_f64 v[48:49], v[50:51], v[48:49]
	v_fma_f64 v[50:51], v[144:145], s[12:13], -v[202:203]
	v_add_f64 v[46:47], v[214:215], v[46:47]
	v_mul_f64 v[214:215], v[186:187], s[44:45]
	v_add_f64 v[48:49], v[50:51], v[48:49]
	v_fma_f64 v[50:51], v[146:147], s[36:37], -v[204:205]
	v_fmac_f64_e32 v[206:207], s[22:23], v[148:149]
	v_fma_f64 v[216:217], v[162:163], s[16:17], -v[214:215]
	v_add_f64 v[48:49], v[50:51], v[48:49]
	v_fmac_f64_e32 v[208:209], s[20:21], v[152:153]
	v_add_f64 v[50:51], v[0:1], v[206:207]
	v_add_f64 v[46:47], v[216:217], v[46:47]
	v_mul_f64 v[216:217], v[190:191], s[42:43]
	v_add_f64 v[50:51], v[208:209], v[50:51]
	v_fmac_f64_e32 v[210:211], s[14:15], v[156:157]
	v_fma_f64 v[218:219], v[166:167], s[12:13], -v[216:217]
	v_add_f64 v[50:51], v[210:211], v[50:51]
	v_fmac_f64_e32 v[212:213], s[26:27], v[158:159]
	v_add_f64 v[46:47], v[218:219], v[46:47]
	v_mul_f64 v[218:219], v[192:193], s[40:41]
	v_add_f64 v[50:51], v[212:213], v[50:51]
	v_fmac_f64_e32 v[214:215], s[16:17], v[162:163]
	v_fma_f64 v[220:221], v[172:173], s[36:37], -v[218:219]
	v_mul_f64 v[222:223], v[194:195], s[10:11]
	v_add_f64 v[50:51], v[214:215], v[50:51]
	v_fmac_f64_e32 v[216:217], s[12:13], v[166:167]
	v_add_f64 v[220:221], v[220:221], v[46:47]
	v_fma_f64 v[46:47], s[18:19], v[188:189], v[222:223]
	v_mul_f64 v[224:225], v[196:197], s[10:11]
	v_add_f64 v[50:51], v[216:217], v[50:51]
	v_fmac_f64_e32 v[218:219], s[36:37], v[172:173]
	v_add_f64 v[46:47], v[46:47], v[44:45]
	v_fma_f64 v[44:45], v[176:177], s[18:19], -v[224:225]
	v_add_f64 v[52:53], v[218:219], v[50:51]
	v_fma_f64 v[50:51], v[188:189], s[18:19], -v[222:223]
	v_fmac_f64_e32 v[224:225], s[18:19], v[176:177]
	v_mul_f64 v[200:201], v[160:161], s[46:47]
	v_add_f64 v[50:51], v[50:51], v[48:49]
	v_add_f64 v[48:49], v[224:225], v[52:53]
	v_fma_f64 v[52:53], s[16:17], v[62:63], v[200:201]
	v_mul_f64 v[202:203], v[154:155], s[40:41]
	v_add_f64 v[52:53], v[2:3], v[52:53]
	v_fma_f64 v[54:55], s[36:37], v[136:137], v[202:203]
	v_mul_f64 v[204:205], v[150:151], s[30:31]
	;; [unrolled: 3-line block ×7, first 2 shown]
	v_add_f64 v[52:53], v[54:55], v[52:53]
	v_fma_f64 v[54:55], v[148:149], s[16:17], -v[214:215]
	v_mul_f64 v[216:217], v[184:185], s[40:41]
	v_fma_f64 v[200:201], v[62:63], s[16:17], -v[200:201]
	v_add_f64 v[54:55], v[0:1], v[54:55]
	v_fma_f64 v[218:219], v[152:153], s[36:37], -v[216:217]
	v_fma_f64 v[202:203], v[136:137], s[36:37], -v[202:203]
	v_add_f64 v[200:201], v[2:3], v[200:201]
	v_add_f64 v[54:55], v[218:219], v[54:55]
	v_mul_f64 v[218:219], v[180:181], s[30:31]
	v_add_f64 v[200:201], v[202:203], v[200:201]
	v_fma_f64 v[202:203], v[138:139], s[20:21], -v[204:205]
	v_add_f64 v[44:45], v[44:45], v[220:221]
	v_fma_f64 v[220:221], v[156:157], s[20:21], -v[218:219]
	;; [unrolled: 2-line block ×3, first 2 shown]
	v_add_f64 v[54:55], v[220:221], v[54:55]
	v_mul_f64 v[220:221], v[182:183], s[24:25]
	v_add_f64 v[200:201], v[202:203], v[200:201]
	v_fma_f64 v[202:203], v[142:143], s[18:19], -v[208:209]
	v_fma_f64 v[222:223], v[158:159], s[14:15], -v[220:221]
	v_add_f64 v[200:201], v[202:203], v[200:201]
	v_fma_f64 v[202:203], v[144:145], s[26:27], -v[210:211]
	v_add_f64 v[54:55], v[222:223], v[54:55]
	v_mul_f64 v[222:223], v[186:187], s[54:55]
	v_add_f64 v[200:201], v[202:203], v[200:201]
	v_fma_f64 v[202:203], v[146:147], s[22:23], -v[212:213]
	v_fmac_f64_e32 v[214:215], s[16:17], v[148:149]
	v_fma_f64 v[224:225], v[162:163], s[18:19], -v[222:223]
	v_add_f64 v[200:201], v[202:203], v[200:201]
	v_fmac_f64_e32 v[216:217], s[36:37], v[152:153]
	v_add_f64 v[202:203], v[0:1], v[214:215]
	v_add_f64 v[54:55], v[224:225], v[54:55]
	v_mul_f64 v[224:225], v[190:191], s[48:49]
	v_add_f64 v[202:203], v[216:217], v[202:203]
	v_fmac_f64_e32 v[218:219], s[20:21], v[156:157]
	v_fma_f64 v[226:227], v[166:167], s[26:27], -v[224:225]
	v_add_f64 v[202:203], v[218:219], v[202:203]
	v_fmac_f64_e32 v[220:221], s[14:15], v[158:159]
	v_add_f64 v[54:55], v[226:227], v[54:55]
	v_mul_f64 v[226:227], v[192:193], s[38:39]
	v_add_f64 v[202:203], v[220:221], v[202:203]
	v_fmac_f64_e32 v[222:223], s[18:19], v[162:163]
	v_fma_f64 v[228:229], v[172:173], s[22:23], -v[226:227]
	v_mul_f64 v[230:231], v[194:195], s[28:29]
	v_add_f64 v[202:203], v[222:223], v[202:203]
	v_fmac_f64_e32 v[224:225], s[26:27], v[166:167]
	v_add_f64 v[228:229], v[228:229], v[54:55]
	v_fma_f64 v[54:55], s[12:13], v[188:189], v[230:231]
	v_mul_f64 v[232:233], v[196:197], s[28:29]
	v_add_f64 v[202:203], v[224:225], v[202:203]
	v_fmac_f64_e32 v[226:227], s[22:23], v[172:173]
	v_add_f64 v[54:55], v[54:55], v[52:53]
	v_fma_f64 v[52:53], v[176:177], s[12:13], -v[232:233]
	v_add_f64 v[204:205], v[226:227], v[202:203]
	v_fma_f64 v[202:203], v[188:189], s[12:13], -v[230:231]
	v_fmac_f64_e32 v[232:233], s[12:13], v[176:177]
	v_mul_f64 v[160:161], v[160:161], s[42:43]
	v_add_f64 v[202:203], v[202:203], v[200:201]
	v_add_f64 v[200:201], v[232:233], v[204:205]
	v_mul_f64 v[154:155], v[154:155], s[46:47]
	v_fma_f64 v[204:205], s[12:13], v[62:63], v[160:161]
	v_add_f64 v[204:205], v[2:3], v[204:205]
	v_fma_f64 v[206:207], s[16:17], v[136:137], v[154:155]
	v_mul_f64 v[150:151], v[150:151], s[50:51]
	v_add_f64 v[204:205], v[206:207], v[204:205]
	v_fma_f64 v[206:207], s[22:23], v[138:139], v[150:151]
	v_mul_f64 v[164:165], v[164:165], s[40:41]
	v_add_f64 v[204:205], v[206:207], v[204:205]
	v_fma_f64 v[206:207], s[36:37], v[140:141], v[164:165]
	v_add_f64 v[204:205], v[206:207], v[204:205]
	v_mul_f64 v[206:207], v[168:169], s[34:35]
	v_fma_f64 v[168:169], s[26:27], v[142:143], v[206:207]
	v_add_f64 v[168:169], v[168:169], v[204:205]
	v_mul_f64 v[204:205], v[170:171], s[30:31]
	v_fma_f64 v[170:171], s[20:21], v[144:145], v[204:205]
	v_mul_f64 v[174:175], v[174:175], s[10:11]
	v_add_f64 v[168:169], v[170:171], v[168:169]
	v_fma_f64 v[170:171], s[18:19], v[146:147], v[174:175]
	v_mul_f64 v[178:179], v[178:179], s[42:43]
	v_fma_f64 v[62:63], v[62:63], s[12:13], -v[160:161]
	v_add_f64 v[168:169], v[170:171], v[168:169]
	v_fma_f64 v[170:171], v[148:149], s[12:13], -v[178:179]
	v_fma_f64 v[136:137], v[136:137], s[16:17], -v[154:155]
	v_add_f64 v[62:63], v[2:3], v[62:63]
	v_fmac_f64_e32 v[178:179], s[12:13], v[148:149]
	v_add_f64 v[170:171], v[0:1], v[170:171]
	v_add_f64 v[62:63], v[136:137], v[62:63]
	;; [unrolled: 1-line block ×18, first 2 shown]
	v_mul_f64 v[184:185], v[184:185], s[46:47]
	v_add_f64 v[2:3], v[2:3], v[68:69]
	v_add_f64 v[0:1], v[0:1], v[70:71]
	v_fma_f64 v[208:209], v[152:153], s[16:17], -v[184:185]
	v_mul_f64 v[180:181], v[180:181], s[50:51]
	v_add_f64 v[2:3], v[2:3], v[76:77]
	v_add_f64 v[0:1], v[0:1], v[74:75]
	;; [unrolled: 1-line block ×3, first 2 shown]
	v_fma_f64 v[208:209], v[156:157], s[22:23], -v[180:181]
	v_mul_f64 v[182:183], v[182:183], s[40:41]
	v_fmac_f64_e32 v[184:185], s[16:17], v[152:153]
	v_add_f64 v[2:3], v[2:3], v[72:73]
	v_add_f64 v[0:1], v[0:1], v[96:97]
	;; [unrolled: 1-line block ×3, first 2 shown]
	v_fma_f64 v[208:209], v[158:159], s[36:37], -v[182:183]
	v_mul_f64 v[186:187], v[186:187], s[34:35]
	v_fma_f64 v[138:139], v[138:139], s[22:23], -v[150:151]
	v_fmac_f64_e32 v[180:181], s[22:23], v[156:157]
	v_add_f64 v[136:137], v[184:185], v[136:137]
	v_add_f64 v[2:3], v[2:3], v[120:121]
	v_add_f64 v[0:1], v[0:1], v[100:101]
	v_add_f64 v[170:171], v[208:209], v[170:171]
	v_fma_f64 v[208:209], v[162:163], s[26:27], -v[186:187]
	v_mul_f64 v[190:191], v[190:191], s[30:31]
	v_fma_f64 v[140:141], v[140:141], s[36:37], -v[164:165]
	v_add_f64 v[62:63], v[138:139], v[62:63]
	v_fmac_f64_e32 v[182:183], s[36:37], v[158:159]
	v_add_f64 v[136:137], v[180:181], v[136:137]
	v_add_f64 v[2:3], v[2:3], v[124:125]
	v_add_f64 v[0:1], v[0:1], v[102:103]
	v_add_f64 v[170:171], v[208:209], v[170:171]
	v_fma_f64 v[208:209], v[166:167], s[20:21], -v[190:191]
	v_mul_f64 v[192:193], v[192:193], s[10:11]
	v_fma_f64 v[142:143], v[142:143], s[26:27], -v[206:207]
	v_add_f64 v[62:63], v[140:141], v[62:63]
	;; [unrolled: 9-line block ×3, first 2 shown]
	v_fmac_f64_e32 v[190:191], s[20:21], v[166:167]
	v_add_f64 v[136:137], v[186:187], v[136:137]
	v_add_f64 v[2:3], v[2:3], v[128:129]
	v_mov_b32_e32 v58, 4
	v_add_f64 v[0:1], v[0:1], v[112:113]
	v_add_f64 v[208:209], v[208:209], v[170:171]
	v_fma_f64 v[170:171], s[14:15], v[188:189], v[194:195]
	v_mul_f64 v[196:197], v[196:197], s[24:25]
	v_fma_f64 v[146:147], v[146:147], s[18:19], -v[174:175]
	v_add_f64 v[62:63], v[144:145], v[62:63]
	v_fmac_f64_e32 v[192:193], s[18:19], v[172:173]
	v_add_f64 v[136:137], v[190:191], v[136:137]
	v_add_f64 v[2:3], v[2:3], v[64:65]
	v_lshlrev_b32_sdwa v58, v58, v87 dst_sel:DWORD dst_unused:UNUSED_PAD src0_sel:DWORD src1_sel:BYTE_0
	v_add_f64 v[0:1], v[0:1], v[56:57]
	v_mul_u32_u24_e32 v56, 0x330, v83
	v_add_f64 v[170:171], v[170:171], v[168:169]
	v_fma_f64 v[168:169], v[176:177], s[14:15], -v[196:197]
	v_fma_f64 v[188:189], v[188:189], s[14:15], -v[194:195]
	v_add_f64 v[62:63], v[146:147], v[62:63]
	v_fmac_f64_e32 v[196:197], s[14:15], v[176:177]
	v_add_f64 v[136:137], v[192:193], v[136:137]
	v_add_f64 v[2:3], v[2:3], v[60:61]
	v_add3_u32 v56, 0, v56, v58
	v_add_f64 v[52:53], v[52:53], v[228:229]
	v_add_f64 v[168:169], v[168:169], v[208:209]
	;; [unrolled: 1-line block ×4, first 2 shown]
	ds_write_b128 v56, v[0:3]
	ds_write_b128 v56, v[136:139] offset:48
	ds_write_b128 v56, v[200:203] offset:96
	;; [unrolled: 1-line block ×16, first 2 shown]
.LBB0_19:
	s_or_b64 exec, exec, s[4:5]
	v_mul_u32_u24_e32 v0, 6, v82
	v_lshlrev_b32_e32 v0, 4, v0
	s_waitcnt lgkmcnt(0)
	; wave barrier
	s_waitcnt lgkmcnt(0)
	global_load_dwordx4 v[4:7], v0, s[8:9] offset:768
	global_load_dwordx4 v[8:11], v0, s[8:9] offset:784
	global_load_dwordx4 v[18:21], v0, s[8:9] offset:800
	global_load_dwordx4 v[22:25], v0, s[8:9] offset:816
	global_load_dwordx4 v[26:29], v0, s[8:9] offset:832
	global_load_dwordx4 v[30:33], v0, s[8:9] offset:848
	v_lshl_add_u32 v15, v90, 4, 0
	v_lshl_add_u32 v14, v86, 4, 0
	;; [unrolled: 1-line block ×3, first 2 shown]
	ds_read_b128 v[34:37], v198
	ds_read_b128 v[38:41], v198 offset:2448
	ds_read_b128 v[42:45], v198 offset:4896
	;; [unrolled: 1-line block ×7, first 2 shown]
	ds_read_b128 v[66:69], v15
	ds_read_b128 v[70:73], v198 offset:9792
	ds_read_b128 v[74:77], v198 offset:8976
	ds_read_b128 v[94:97], v14
	ds_read_b128 v[0:3], v16
	ds_read_b128 v[98:101], v198 offset:10608
	s_mov_b32 s10, 0x37e14327
	s_mov_b32 s4, 0x36b3c0b5
	s_mov_b32 s14, 0xe976ee23
	s_mov_b32 s12, 0x429ad128
	s_mov_b32 s16, 0xaaaaaaaa
	s_mov_b32 s11, 0x3fe948f6
	s_mov_b32 s5, 0x3fac98ee
	s_mov_b32 s15, 0x3fe11646
	s_mov_b32 s13, 0xbfebfeb5
	s_mov_b32 s17, 0xbff2aaaa
	s_mov_b32 s18, 0x5476071b
	s_mov_b32 s22, 0xb247c609
	s_mov_b32 s19, 0x3fe77f67
	s_mov_b32 s21, 0xbfe77f67
	s_mov_b32 s20, s18
	s_mov_b32 s23, 0xbfd5d0dc
	s_mov_b32 s27, 0x3fd5d0dc
	s_mov_b32 s26, s22
	s_mov_b32 s24, 0x37c3f68c
	s_mov_b32 s25, 0xbfdc38aa
	v_mov_b32_e32 v83, 0
	s_waitcnt lgkmcnt(0)
	; wave barrier
	s_waitcnt lgkmcnt(0)
	v_mov_b32_e32 v93, v83
	v_mov_b32_e32 v91, v83
	;; [unrolled: 1-line block ×4, first 2 shown]
	v_lshl_add_u32 v17, v88, 4, 0
	s_waitcnt vmcnt(5)
	v_mul_f64 v[12:13], v[68:69], v[6:7]
	s_waitcnt vmcnt(4)
	v_mul_f64 v[102:103], v[96:97], v[10:11]
	v_mul_f64 v[78:79], v[66:67], v[6:7]
	;; [unrolled: 1-line block ×3, first 2 shown]
	s_waitcnt vmcnt(1)
	v_mul_f64 v[114:115], v[60:61], v[28:29]
	s_waitcnt vmcnt(0)
	v_mul_f64 v[118:119], v[72:73], v[32:33]
	v_mul_f64 v[106:107], v[44:45], v[20:21]
	v_mul_f64 v[108:109], v[42:43], v[20:21]
	v_mul_f64 v[110:111], v[52:53], v[24:25]
	v_mul_f64 v[112:113], v[50:51], v[24:25]
	v_mul_f64 v[116:117], v[58:59], v[28:29]
	v_mul_f64 v[120:121], v[70:71], v[32:33]
	v_mul_f64 v[122:123], v[40:41], v[6:7]
	v_mul_f64 v[6:7], v[38:39], v[6:7]
	v_mul_f64 v[124:125], v[48:49], v[10:11]
	v_mul_f64 v[10:11], v[46:47], v[10:11]
	v_fmac_f64_e32 v[12:13], v[66:67], v[4:5]
	v_fmac_f64_e32 v[102:103], v[94:95], v[8:9]
	;; [unrolled: 1-line block ×4, first 2 shown]
	v_mul_f64 v[126:127], v[56:57], v[20:21]
	v_mul_f64 v[20:21], v[54:55], v[20:21]
	;; [unrolled: 1-line block ×8, first 2 shown]
	v_fma_f64 v[66:67], v[68:69], v[4:5], -v[78:79]
	v_fma_f64 v[68:69], v[96:97], v[8:9], -v[104:105]
	v_fmac_f64_e32 v[106:107], v[42:43], v[18:19]
	v_fma_f64 v[42:43], v[44:45], v[18:19], -v[108:109]
	v_fmac_f64_e32 v[110:111], v[50:51], v[22:23]
	v_fma_f64 v[44:45], v[52:53], v[22:23], -v[112:113]
	v_fma_f64 v[50:51], v[60:61], v[26:27], -v[116:117]
	;; [unrolled: 1-line block ×3, first 2 shown]
	v_fmac_f64_e32 v[122:123], v[38:39], v[4:5]
	v_fma_f64 v[38:39], v[40:41], v[4:5], -v[6:7]
	v_fmac_f64_e32 v[124:125], v[46:47], v[8:9]
	v_fma_f64 v[40:41], v[48:49], v[8:9], -v[10:11]
	v_add_f64 v[4:5], v[12:13], v[118:119]
	v_add_f64 v[8:9], v[12:13], -v[118:119]
	v_add_f64 v[12:13], v[102:103], v[114:115]
	v_fmac_f64_e32 v[126:127], v[54:55], v[18:19]
	v_fma_f64 v[46:47], v[56:57], v[18:19], -v[20:21]
	v_fma_f64 v[48:49], v[64:65], v[22:23], -v[24:25]
	;; [unrolled: 1-line block ×4, first 2 shown]
	v_add_f64 v[6:7], v[66:67], v[52:53]
	v_add_f64 v[18:19], v[68:69], v[50:51]
	v_add_f64 v[20:21], v[102:103], -v[114:115]
	v_add_f64 v[24:25], v[106:107], v[110:111]
	v_add_f64 v[28:29], v[110:111], -v[106:107]
	v_add_f64 v[32:33], v[12:13], v[4:5]
	v_fmac_f64_e32 v[128:129], v[62:63], v[22:23]
	v_fmac_f64_e32 v[130:131], v[74:75], v[26:27]
	;; [unrolled: 1-line block ×3, first 2 shown]
	v_add_f64 v[10:11], v[66:67], -v[52:53]
	v_add_f64 v[22:23], v[68:69], -v[50:51]
	v_add_f64 v[26:27], v[42:43], v[44:45]
	v_add_f64 v[30:31], v[44:45], -v[42:43]
	v_add_f64 v[42:43], v[18:19], v[6:7]
	v_add_f64 v[44:45], v[12:13], -v[4:5]
	v_add_f64 v[52:53], v[4:5], -v[24:25]
	;; [unrolled: 1-line block ×3, first 2 shown]
	v_add_f64 v[4:5], v[28:29], v[20:21]
	v_add_f64 v[24:25], v[24:25], v[32:33]
	v_add_f64 v[50:51], v[18:19], -v[6:7]
	v_add_f64 v[58:59], v[6:7], -v[26:27]
	;; [unrolled: 1-line block ×3, first 2 shown]
	v_add_f64 v[6:7], v[30:31], v[22:23]
	v_add_f64 v[60:61], v[28:29], -v[20:21]
	v_add_f64 v[28:29], v[8:9], -v[28:29]
	;; [unrolled: 1-line block ×3, first 2 shown]
	v_add_f64 v[26:27], v[26:27], v[42:43]
	v_add_f64 v[8:9], v[4:5], v[8:9]
	;; [unrolled: 1-line block ×3, first 2 shown]
	v_add_f64 v[62:63], v[30:31], -v[22:23]
	v_add_f64 v[30:31], v[10:11], -v[30:31]
	v_add_f64 v[22:23], v[22:23], -v[10:11]
	v_add_f64 v[10:11], v[6:7], v[10:11]
	v_add_f64 v[6:7], v[36:37], v[26:27]
	v_mov_b64_e32 v[64:65], v[4:5]
	v_mul_f64 v[32:33], v[52:53], s[10:11]
	v_mul_f64 v[34:35], v[58:59], s[10:11]
	;; [unrolled: 1-line block ×8, first 2 shown]
	v_fmac_f64_e32 v[64:65], s[16:17], v[24:25]
	v_mov_b64_e32 v[24:25], v[6:7]
	v_fmac_f64_e32 v[24:25], s[16:17], v[26:27]
	v_fma_f64 v[26:27], v[44:45], s[18:19], -v[36:37]
	v_fma_f64 v[36:37], v[50:51], s[18:19], -v[42:43]
	;; [unrolled: 1-line block ×3, first 2 shown]
	v_fmac_f64_e32 v[32:33], s[4:5], v[12:13]
	v_fma_f64 v[12:13], v[50:51], s[20:21], -v[34:35]
	v_fma_f64 v[50:51], v[22:23], s[12:13], -v[58:59]
	v_fmac_f64_e32 v[58:59], s[22:23], v[30:31]
	v_fma_f64 v[60:61], v[28:29], s[26:27], -v[60:61]
	v_fma_f64 v[30:31], v[30:31], s[26:27], -v[62:63]
	v_fmac_f64_e32 v[34:35], s[4:5], v[18:19]
	v_fma_f64 v[44:45], v[20:21], s[12:13], -v[52:53]
	v_fmac_f64_e32 v[52:53], s[22:23], v[28:29]
	v_add_f64 v[62:63], v[32:33], v[64:65]
	v_add_f64 v[26:27], v[26:27], v[64:65]
	v_add_f64 v[32:33], v[42:43], v[64:65]
	v_add_f64 v[12:13], v[12:13], v[24:25]
	v_fmac_f64_e32 v[50:51], s[24:25], v[10:11]
	v_fmac_f64_e32 v[60:61], s[24:25], v[8:9]
	;; [unrolled: 1-line block ×3, first 2 shown]
	v_add_f64 v[66:67], v[34:35], v[24:25]
	v_fmac_f64_e32 v[52:53], s[24:25], v[8:9]
	v_fmac_f64_e32 v[58:59], s[24:25], v[10:11]
	v_add_f64 v[18:19], v[30:31], v[32:33]
	v_add_f64 v[20:21], v[12:13], -v[60:61]
	v_add_f64 v[22:23], v[26:27], -v[50:51]
	v_add_f64 v[26:27], v[50:51], v[26:27]
	v_add_f64 v[30:31], v[32:33], -v[30:31]
	v_add_f64 v[32:33], v[60:61], v[12:13]
	v_add_f64 v[12:13], v[122:123], v[132:133]
	;; [unrolled: 1-line block ×4, first 2 shown]
	v_fmac_f64_e32 v[44:45], s[24:25], v[8:9]
	v_add_f64 v[8:9], v[58:59], v[62:63]
	v_add_f64 v[10:11], v[66:67], -v[52:53]
	v_add_f64 v[34:35], v[62:63], -v[58:59]
	v_add_f64 v[36:37], v[52:53], v[66:67]
	v_add_f64 v[42:43], v[38:39], v[56:57]
	;; [unrolled: 1-line block ×3, first 2 shown]
	v_add_f64 v[40:41], v[40:41], -v[54:55]
	v_add_f64 v[54:55], v[126:127], v[128:129]
	v_add_f64 v[58:59], v[46:47], v[48:49]
	v_add_f64 v[46:47], v[48:49], -v[46:47]
	v_add_f64 v[48:49], v[50:51], v[12:13]
	v_add_f64 v[62:63], v[52:53], v[42:43]
	;; [unrolled: 1-line block ×3, first 2 shown]
	v_add_f64 v[38:39], v[38:39], -v[56:57]
	v_add_f64 v[56:57], v[124:125], -v[130:131]
	;; [unrolled: 1-line block ×6, first 2 shown]
	v_add_f64 v[54:55], v[58:59], v[62:63]
	v_add_f64 v[0:1], v[0:1], v[48:49]
	v_add_f64 v[24:25], v[44:45], v[28:29]
	v_add_f64 v[28:29], v[28:29], -v[44:45]
	v_add_f64 v[44:45], v[122:123], -v[132:133]
	;; [unrolled: 1-line block ×5, first 2 shown]
	v_add_f64 v[68:69], v[60:61], v[56:57]
	v_add_f64 v[70:71], v[46:47], v[40:41]
	v_add_f64 v[72:73], v[60:61], -v[56:57]
	v_add_f64 v[74:75], v[46:47], -v[40:41]
	;; [unrolled: 1-line block ×3, first 2 shown]
	v_add_f64 v[2:3], v[2:3], v[54:55]
	v_mov_b64_e32 v[76:77], v[0:1]
	v_add_f64 v[60:61], v[44:45], -v[60:61]
	v_add_f64 v[46:47], v[38:39], -v[46:47]
	;; [unrolled: 1-line block ×3, first 2 shown]
	v_add_f64 v[44:45], v[68:69], v[44:45]
	v_add_f64 v[38:39], v[70:71], v[38:39]
	v_mul_f64 v[12:13], v[12:13], s[10:11]
	v_mul_f64 v[42:43], v[42:43], s[10:11]
	v_mul_f64 v[58:59], v[50:51], s[4:5]
	v_mul_f64 v[62:63], v[52:53], s[4:5]
	v_mul_f64 v[68:69], v[72:73], s[14:15]
	v_mul_f64 v[70:71], v[74:75], s[14:15]
	v_mul_f64 v[74:75], v[40:41], s[12:13]
	v_fmac_f64_e32 v[76:77], s[16:17], v[48:49]
	v_mov_b64_e32 v[48:49], v[2:3]
	v_mul_f64 v[72:73], v[56:57], s[12:13]
	v_fmac_f64_e32 v[48:49], s[16:17], v[54:55]
	v_fma_f64 v[50:51], s[4:5], v[50:51], v[12:13]
	v_fma_f64 v[54:55], v[64:65], s[18:19], -v[58:59]
	v_fma_f64 v[58:59], v[66:67], s[18:19], -v[62:63]
	;; [unrolled: 1-line block ×4, first 2 shown]
	v_fmac_f64_e32 v[42:43], s[4:5], v[52:53]
	v_fma_f64 v[52:53], v[56:57], s[12:13], -v[68:69]
	v_fma_f64 v[66:67], v[46:47], s[26:27], -v[74:75]
	v_fma_f64 v[64:65], s[22:23], v[60:61], v[68:69]
	v_fma_f64 v[56:57], v[40:41], s[12:13], -v[70:71]
	v_fmac_f64_e32 v[70:71], s[22:23], v[46:47]
	v_fma_f64 v[60:61], v[60:61], s[26:27], -v[72:73]
	v_add_f64 v[68:69], v[50:51], v[76:77]
	v_add_f64 v[50:51], v[54:55], v[76:77]
	;; [unrolled: 1-line block ×4, first 2 shown]
	v_fmac_f64_e32 v[52:53], s[24:25], v[44:45]
	v_fmac_f64_e32 v[66:67], s[24:25], v[38:39]
	v_add_f64 v[72:73], v[42:43], v[48:49]
	v_add_f64 v[58:59], v[62:63], v[48:49]
	v_fmac_f64_e32 v[64:65], s[24:25], v[44:45]
	v_fmac_f64_e32 v[70:71], s[24:25], v[38:39]
	;; [unrolled: 1-line block ×4, first 2 shown]
	v_add_f64 v[42:43], v[66:67], v[12:13]
	v_add_f64 v[48:49], v[52:53], v[54:55]
	v_add_f64 v[52:53], v[54:55], -v[52:53]
	v_add_f64 v[54:55], v[12:13], -v[66:67]
	v_lshl_add_u64 v[12:13], v[82:83], 4, s[8:9]
	s_movk_i32 s4, 0x1000
	v_add_f64 v[38:39], v[70:71], v[68:69]
	v_add_f64 v[40:41], v[72:73], -v[64:65]
	v_add_f64 v[44:45], v[58:59], -v[60:61]
	;; [unrolled: 1-line block ×3, first 2 shown]
	v_add_f64 v[50:51], v[56:57], v[50:51]
	v_add_f64 v[56:57], v[60:61], v[58:59]
	v_add_f64 v[58:59], v[68:69], -v[70:71]
	v_add_f64 v[60:61], v[64:65], v[72:73]
	ds_write_b128 v198, v[4:7]
	ds_write_b128 v198, v[8:11] offset:816
	ds_write_b128 v198, v[18:21] offset:1632
	;; [unrolled: 1-line block ×13, first 2 shown]
	v_add_co_u32_e32 v0, vcc, s4, v12
	v_lshl_add_u64 v[2:3], v[92:93], 4, s[8:9]
	s_nop 0
	v_addc_co_u32_e32 v1, vcc, 0, v13, vcc
	v_add_co_u32_e32 v4, vcc, s4, v2
	v_lshl_add_u64 v[8:9], v[90:91], 4, s[8:9]
	s_nop 0
	v_addc_co_u32_e32 v5, vcc, 0, v3, vcc
	v_add_co_u32_e32 v22, vcc, s4, v8
	s_waitcnt lgkmcnt(0)
	s_nop 0
	v_addc_co_u32_e32 v23, vcc, 0, v9, vcc
	v_lshl_add_u64 v[8:9], v[88:89], 4, s[8:9]
	v_add_co_u32_e32 v24, vcc, s4, v8
	; wave barrier
	global_load_dwordx4 v[0:3], v[0:1], off offset:1568
	s_nop 0
	global_load_dwordx4 v[4:7], v[4:5], off offset:1568
	v_addc_co_u32_e32 v25, vcc, 0, v9, vcc
	global_load_dwordx4 v[8:11], v[22:23], off offset:1568
	global_load_dwordx4 v[18:21], v[24:25], off offset:1568
	v_lshl_add_u64 v[22:23], v[86:87], 4, s[8:9]
	v_add_co_u32_e32 v22, vcc, s4, v22
	s_movk_i32 s4, 0x2000
	s_nop 0
	v_addc_co_u32_e32 v23, vcc, 0, v23, vcc
	global_load_dwordx4 v[22:25], v[22:23], off offset:1568
	v_add_co_u32_e32 v12, vcc, s4, v12
	s_add_u32 s4, s8, 0x2c70
	s_nop 0
	v_addc_co_u32_e32 v13, vcc, 0, v13, vcc
	global_load_dwordx4 v[26:29], v[12:13], off offset:1552
	global_load_dwordx4 v[30:33], v[12:13], off offset:2368
	ds_read_b128 v[34:37], v198 offset:5712
	ds_read_b128 v[38:41], v198 offset:6528
	;; [unrolled: 1-line block ×3, first 2 shown]
	ds_read_b128 v[46:49], v16
	ds_read_b128 v[50:53], v17
	;; [unrolled: 1-line block ×4, first 2 shown]
	ds_read_b128 v[62:65], v198 offset:8160
	ds_read_b128 v[66:69], v198 offset:8976
	ds_read_b128 v[70:73], v198
	ds_read_b128 v[74:77], v198 offset:4080
	ds_read_b128 v[94:97], v198 offset:4896
	;; [unrolled: 1-line block ×4, first 2 shown]
	s_waitcnt lgkmcnt(0)
	; wave barrier
	s_waitcnt lgkmcnt(0)
	s_addc_u32 s5, s9, 0
	v_cmp_ne_u32_e32 vcc, 0, v82
	s_waitcnt vmcnt(6)
	v_mul_f64 v[12:13], v[36:37], v[2:3]
	v_mul_f64 v[2:3], v[34:35], v[2:3]
	v_fmac_f64_e32 v[12:13], v[34:35], v[0:1]
	v_fma_f64 v[2:3], v[36:37], v[0:1], -v[2:3]
	s_waitcnt vmcnt(5)
	v_mul_f64 v[0:1], v[38:39], v[6:7]
	v_mul_f64 v[34:35], v[40:41], v[6:7]
	v_fma_f64 v[36:37], v[40:41], v[4:5], -v[0:1]
	s_waitcnt vmcnt(4)
	v_mul_f64 v[0:1], v[42:43], v[10:11]
	v_fmac_f64_e32 v[34:35], v[38:39], v[4:5]
	v_mul_f64 v[38:39], v[44:45], v[10:11]
	v_fma_f64 v[40:41], v[44:45], v[8:9], -v[0:1]
	s_waitcnt vmcnt(3)
	v_mul_f64 v[0:1], v[62:63], v[20:21]
	v_fmac_f64_e32 v[38:39], v[42:43], v[8:9]
	;; [unrolled: 5-line block ×4, first 2 shown]
	v_mul_f64 v[66:67], v[100:101], v[28:29]
	v_fma_f64 v[68:69], v[100:101], v[26:27], -v[0:1]
	s_waitcnt vmcnt(0)
	v_mul_f64 v[78:79], v[104:105], v[32:33]
	v_mul_f64 v[0:1], v[102:103], v[32:33]
	v_fmac_f64_e32 v[66:67], v[98:99], v[26:27]
	v_fmac_f64_e32 v[78:79], v[102:103], v[30:31]
	v_fma_f64 v[98:99], v[104:105], v[30:31], -v[0:1]
	v_add_f64 v[0:1], v[70:71], -v[12:13]
	v_add_f64 v[2:3], v[72:73], -v[2:3]
	;; [unrolled: 1-line block ×6, first 2 shown]
	v_fma_f64 v[4:5], v[70:71], 2.0, -v[0:1]
	v_fma_f64 v[6:7], v[72:73], 2.0, -v[2:3]
	;; [unrolled: 1-line block ×6, first 2 shown]
	v_add_f64 v[30:31], v[50:51], -v[42:43]
	v_add_f64 v[32:33], v[52:53], -v[44:45]
	;; [unrolled: 1-line block ×8, first 2 shown]
	v_fma_f64 v[34:35], v[50:51], 2.0, -v[30:31]
	v_fma_f64 v[36:37], v[52:53], 2.0, -v[32:33]
	;; [unrolled: 1-line block ×8, first 2 shown]
	ds_write_b128 v198, v[4:7]
	ds_write_b128 v198, v[0:3] offset:5712
	ds_write_b128 v16, v[18:21]
	ds_write_b128 v16, v[8:11] offset:5712
	;; [unrolled: 2-line block ×5, first 2 shown]
	ds_write_b128 v198, v[50:53] offset:4080
	ds_write_b128 v198, v[46:49] offset:9792
	;; [unrolled: 1-line block ×4, first 2 shown]
	s_waitcnt lgkmcnt(0)
	; wave barrier
	s_waitcnt lgkmcnt(0)
	ds_read_b128 v[0:3], v198
	v_lshlrev_b32_e32 v4, 4, v82
	v_sub_u32_e32 v18, 0, v4
	v_lshl_add_u64 v[8:9], v[82:83], 4, s[4:5]
                                        ; implicit-def: $vgpr4_vgpr5
                                        ; implicit-def: $vgpr10_vgpr11
                                        ; implicit-def: $vgpr12_vgpr13
	s_and_saveexec_b64 s[8:9], vcc
	s_xor_b64 s[8:9], exec, s[8:9]
	s_cbranch_execz .LBB0_21
; %bb.20:
	global_load_dwordx4 v[20:23], v[8:9], off
	ds_read_b128 v[4:7], v18 offset:11424
	s_waitcnt lgkmcnt(0)
	v_add_f64 v[24:25], v[0:1], v[4:5]
	v_add_f64 v[0:1], v[0:1], -v[4:5]
	v_add_f64 v[10:11], v[2:3], v[6:7]
	v_add_f64 v[2:3], v[2:3], -v[6:7]
	v_mul_f64 v[0:1], v[0:1], 0.5
	v_mul_f64 v[4:5], v[10:11], 0.5
	;; [unrolled: 1-line block ×3, first 2 shown]
	s_waitcnt vmcnt(0)
	v_mul_f64 v[6:7], v[0:1], v[22:23]
	v_fma_f64 v[12:13], v[4:5], v[22:23], v[2:3]
	v_fma_f64 v[2:3], v[4:5], v[22:23], -v[2:3]
	v_fma_f64 v[10:11], 0.5, v[24:25], v[6:7]
	v_fma_f64 v[6:7], v[24:25], 0.5, -v[6:7]
	v_fma_f64 v[12:13], -v[20:21], v[0:1], v[12:13]
	v_fmac_f64_e32 v[10:11], v[4:5], v[20:21]
	v_fma_f64 v[4:5], -v[4:5], v[20:21], v[6:7]
	v_fma_f64 v[6:7], -v[20:21], v[0:1], v[2:3]
                                        ; implicit-def: $vgpr0_vgpr1
.LBB0_21:
	s_andn2_saveexec_b64 s[8:9], s[8:9]
	s_cbranch_execz .LBB0_23
; %bb.22:
	v_mov_b32_e32 v19, 0
	ds_read_b64 v[6:7], v19 offset:5720
	v_mov_b64_e32 v[12:13], 0
	s_waitcnt lgkmcnt(1)
	v_add_f64 v[10:11], v[0:1], v[2:3]
	v_add_f64 v[4:5], v[0:1], -v[2:3]
	s_waitcnt lgkmcnt(0)
	v_xor_b32_e32 v7, 0x80000000, v7
	ds_write_b64 v19, v[6:7] offset:5720
	v_mov_b64_e32 v[6:7], v[12:13]
.LBB0_23:
	s_or_b64 exec, exec, s[8:9]
	s_waitcnt lgkmcnt(0)
	v_lshl_add_u64 v[0:1], v[92:93], 4, s[4:5]
	global_load_dwordx4 v[20:23], v[0:1], off
	v_lshl_add_u64 v[24:25], v[88:89], 4, s[4:5]
	global_load_dwordx4 v[24:27], v[24:25], off
	;; [unrolled: 2-line block ×3, first 2 shown]
	ds_write2_b64 v198, v[10:11], v[12:13] offset1:1
	ds_write_b128 v18, v[4:7] offset:11424
	v_lshl_add_u64 v[28:29], v[86:87], 4, s[4:5]
	ds_read_b128 v[4:7], v16
	ds_read_b128 v[10:13], v18 offset:10608
	global_load_dwordx4 v[28:31], v[28:29], off
	s_movk_i32 s4, 0x1000
	v_add_u32_e32 v19, 0x800, v198
	s_waitcnt lgkmcnt(0)
	v_add_f64 v[32:33], v[4:5], v[10:11]
	v_add_f64 v[4:5], v[4:5], -v[10:11]
	v_add_f64 v[34:35], v[6:7], v[12:13]
	v_add_f64 v[6:7], v[6:7], -v[12:13]
	v_mul_f64 v[4:5], v[4:5], 0.5
	v_mul_f64 v[10:11], v[34:35], 0.5
	;; [unrolled: 1-line block ×3, first 2 shown]
	s_waitcnt vmcnt(3)
	v_mul_f64 v[12:13], v[4:5], v[22:23]
	v_fma_f64 v[34:35], v[10:11], v[22:23], v[6:7]
	v_fma_f64 v[6:7], v[10:11], v[22:23], -v[6:7]
	v_fma_f64 v[22:23], 0.5, v[32:33], v[12:13]
	v_fma_f64 v[34:35], -v[20:21], v[4:5], v[34:35]
	v_fma_f64 v[12:13], v[32:33], 0.5, -v[12:13]
	v_fmac_f64_e32 v[22:23], v[10:11], v[20:21]
	v_fma_f64 v[6:7], -v[20:21], v[4:5], v[6:7]
	v_fma_f64 v[4:5], -v[10:11], v[20:21], v[12:13]
	ds_write2_b64 v16, v[22:23], v[34:35] offset1:1
	ds_write_b128 v18, v[4:7] offset:10608
	ds_read_b128 v[4:7], v15
	ds_read_b128 v[10:13], v18 offset:9792
	global_load_dwordx4 v[20:23], v[8:9], off offset:4080
	v_add_co_u32_e32 v8, vcc, s4, v8
	s_waitcnt lgkmcnt(0)
	v_add_f64 v[32:33], v[4:5], v[10:11]
	v_add_f64 v[4:5], v[4:5], -v[10:11]
	v_add_f64 v[34:35], v[6:7], v[12:13]
	v_add_f64 v[6:7], v[6:7], -v[12:13]
	v_mul_f64 v[4:5], v[4:5], 0.5
	v_mul_f64 v[10:11], v[34:35], 0.5
	;; [unrolled: 1-line block ×3, first 2 shown]
	s_waitcnt vmcnt(2)
	v_mul_f64 v[12:13], v[4:5], v[2:3]
	v_fma_f64 v[34:35], v[10:11], v[2:3], v[6:7]
	v_fma_f64 v[2:3], v[10:11], v[2:3], -v[6:7]
	v_fma_f64 v[6:7], 0.5, v[32:33], v[12:13]
	v_fma_f64 v[34:35], -v[0:1], v[4:5], v[34:35]
	v_fma_f64 v[12:13], v[32:33], 0.5, -v[12:13]
	v_fmac_f64_e32 v[6:7], v[10:11], v[0:1]
	v_fma_f64 v[2:3], -v[0:1], v[4:5], v[2:3]
	v_fma_f64 v[0:1], -v[10:11], v[0:1], v[12:13]
	ds_write2_b64 v15, v[6:7], v[34:35] offset1:1
	ds_write_b128 v18, v[0:3] offset:9792
	v_addc_co_u32_e32 v9, vcc, 0, v9, vcc
	ds_read_b128 v[0:3], v17
	ds_read_b128 v[4:7], v18 offset:8976
	global_load_dwordx4 v[8:11], v[8:9], off offset:800
	s_waitcnt lgkmcnt(0)
	v_add_f64 v[12:13], v[0:1], v[4:5]
	v_add_f64 v[0:1], v[0:1], -v[4:5]
	v_add_f64 v[32:33], v[2:3], v[6:7]
	v_add_f64 v[2:3], v[2:3], -v[6:7]
	v_mul_f64 v[0:1], v[0:1], 0.5
	v_mul_f64 v[4:5], v[32:33], 0.5
	;; [unrolled: 1-line block ×3, first 2 shown]
	v_mul_f64 v[6:7], v[0:1], v[26:27]
	v_fma_f64 v[32:33], v[4:5], v[26:27], v[2:3]
	v_fma_f64 v[2:3], v[4:5], v[26:27], -v[2:3]
	v_fma_f64 v[26:27], 0.5, v[12:13], v[6:7]
	v_fma_f64 v[32:33], -v[24:25], v[0:1], v[32:33]
	v_fma_f64 v[6:7], v[12:13], 0.5, -v[6:7]
	v_fmac_f64_e32 v[26:27], v[4:5], v[24:25]
	v_fma_f64 v[2:3], -v[24:25], v[0:1], v[2:3]
	v_fma_f64 v[0:1], -v[4:5], v[24:25], v[6:7]
	ds_write2_b64 v17, v[26:27], v[32:33] offset1:1
	ds_write_b128 v18, v[0:3] offset:8976
	ds_read_b128 v[0:3], v14
	ds_read_b128 v[4:7], v18 offset:8160
	s_waitcnt lgkmcnt(0)
	v_add_f64 v[12:13], v[0:1], v[4:5]
	v_add_f64 v[0:1], v[0:1], -v[4:5]
	v_add_f64 v[16:17], v[2:3], v[6:7]
	v_add_f64 v[2:3], v[2:3], -v[6:7]
	v_mul_f64 v[0:1], v[0:1], 0.5
	v_mul_f64 v[4:5], v[16:17], 0.5
	;; [unrolled: 1-line block ×3, first 2 shown]
	s_waitcnt vmcnt(2)
	v_mul_f64 v[6:7], v[0:1], v[30:31]
	v_fma_f64 v[16:17], v[4:5], v[30:31], v[2:3]
	v_fma_f64 v[24:25], 0.5, v[12:13], v[6:7]
	v_fma_f64 v[2:3], v[4:5], v[30:31], -v[2:3]
	v_fma_f64 v[16:17], -v[28:29], v[0:1], v[16:17]
	v_fma_f64 v[6:7], v[12:13], 0.5, -v[6:7]
	v_fmac_f64_e32 v[24:25], v[4:5], v[28:29]
	v_fma_f64 v[2:3], -v[28:29], v[0:1], v[2:3]
	v_fma_f64 v[0:1], -v[4:5], v[28:29], v[6:7]
	ds_write2_b64 v14, v[24:25], v[16:17] offset1:1
	ds_write_b128 v18, v[0:3] offset:8160
	ds_read_b128 v[0:3], v198 offset:4080
	ds_read_b128 v[4:7], v18 offset:7344
	s_waitcnt lgkmcnt(0)
	v_add_f64 v[12:13], v[0:1], v[4:5]
	v_add_f64 v[0:1], v[0:1], -v[4:5]
	v_add_f64 v[14:15], v[2:3], v[6:7]
	v_add_f64 v[2:3], v[2:3], -v[6:7]
	v_mul_f64 v[0:1], v[0:1], 0.5
	v_mul_f64 v[4:5], v[14:15], 0.5
	;; [unrolled: 1-line block ×3, first 2 shown]
	s_waitcnt vmcnt(1)
	v_mul_f64 v[6:7], v[0:1], v[22:23]
	v_fma_f64 v[14:15], v[4:5], v[22:23], v[2:3]
	v_fma_f64 v[16:17], 0.5, v[12:13], v[6:7]
	v_fma_f64 v[2:3], v[4:5], v[22:23], -v[2:3]
	v_fma_f64 v[14:15], -v[20:21], v[0:1], v[14:15]
	v_fma_f64 v[6:7], v[12:13], 0.5, -v[6:7]
	v_fmac_f64_e32 v[16:17], v[4:5], v[20:21]
	v_fma_f64 v[2:3], -v[20:21], v[0:1], v[2:3]
	v_fma_f64 v[0:1], -v[4:5], v[20:21], v[6:7]
	ds_write2_b64 v19, v[16:17], v[14:15] offset0:254 offset1:255
	ds_write_b128 v18, v[0:3] offset:7344
	ds_read_b128 v[0:3], v198 offset:4896
	ds_read_b128 v[4:7], v18 offset:6528
	v_add_u32_e32 v16, 0x1000, v198
	s_waitcnt lgkmcnt(0)
	v_add_f64 v[12:13], v[0:1], v[4:5]
	v_add_f64 v[0:1], v[0:1], -v[4:5]
	v_add_f64 v[14:15], v[2:3], v[6:7]
	v_add_f64 v[2:3], v[2:3], -v[6:7]
	v_mul_f64 v[0:1], v[0:1], 0.5
	v_mul_f64 v[4:5], v[14:15], 0.5
	;; [unrolled: 1-line block ×3, first 2 shown]
	s_waitcnt vmcnt(0)
	v_mul_f64 v[6:7], v[0:1], v[10:11]
	v_fma_f64 v[14:15], v[4:5], v[10:11], v[2:3]
	v_fma_f64 v[2:3], v[4:5], v[10:11], -v[2:3]
	v_fma_f64 v[10:11], 0.5, v[12:13], v[6:7]
	v_fma_f64 v[14:15], -v[8:9], v[0:1], v[14:15]
	v_fma_f64 v[6:7], v[12:13], 0.5, -v[6:7]
	v_fmac_f64_e32 v[10:11], v[4:5], v[8:9]
	v_fma_f64 v[2:3], -v[8:9], v[0:1], v[2:3]
	v_fma_f64 v[0:1], -v[4:5], v[8:9], v[6:7]
	ds_write2_b64 v16, v[10:11], v[14:15] offset0:100 offset1:101
	ds_write_b128 v18, v[0:3] offset:6528
	s_waitcnt lgkmcnt(0)
	; wave barrier
	s_waitcnt lgkmcnt(0)
	s_and_saveexec_b64 s[4:5], s[0:1]
	s_cbranch_execz .LBB0_26
; %bb.24:
	v_mul_lo_u32 v2, s3, v84
	v_mul_lo_u32 v3, s2, v85
	v_mad_u64_u32 v[0:1], s[0:1], s2, v84, 0
	v_lshl_add_u32 v12, v82, 4, 0
	v_add3_u32 v1, v1, v3, v2
	ds_read_b128 v[2:5], v12
	ds_read_b128 v[6:9], v12 offset:816
	v_lshl_add_u64 v[0:1], v[0:1], 4, s[6:7]
	v_mov_b32_e32 v83, 0
	v_lshl_add_u64 v[0:1], v[80:81], 4, v[0:1]
	v_lshl_add_u64 v[10:11], v[82:83], 4, v[0:1]
	s_waitcnt lgkmcnt(1)
	global_store_dwordx4 v[10:11], v[2:5], off
	v_cmp_eq_u32_e32 vcc, 50, v82
	s_nop 0
	v_add_u32_e32 v2, 51, v82
	v_mov_b32_e32 v3, v83
	v_lshl_add_u64 v[2:3], v[2:3], 4, v[0:1]
	s_waitcnt lgkmcnt(0)
	global_store_dwordx4 v[2:3], v[6:9], off
	ds_read_b128 v[2:5], v12 offset:1632
	s_nop 0
	v_add_u32_e32 v6, 0x66, v82
	v_mov_b32_e32 v7, v83
	v_lshl_add_u64 v[10:11], v[6:7], 4, v[0:1]
	ds_read_b128 v[6:9], v12 offset:2448
	s_waitcnt lgkmcnt(1)
	global_store_dwordx4 v[10:11], v[2:5], off
	s_nop 1
	v_add_u32_e32 v2, 0x99, v82
	v_mov_b32_e32 v3, v83
	v_lshl_add_u64 v[2:3], v[2:3], 4, v[0:1]
	s_waitcnt lgkmcnt(0)
	global_store_dwordx4 v[2:3], v[6:9], off
	ds_read_b128 v[2:5], v12 offset:3264
	s_nop 0
	v_add_u32_e32 v6, 0xcc, v82
	v_mov_b32_e32 v7, v83
	v_lshl_add_u64 v[10:11], v[6:7], 4, v[0:1]
	ds_read_b128 v[6:9], v12 offset:4080
	s_waitcnt lgkmcnt(1)
	global_store_dwordx4 v[10:11], v[2:5], off
	;; [unrolled: 14-line block ×6, first 2 shown]
	s_nop 1
	v_add_u32_e32 v2, 0x297, v82
	v_mov_b32_e32 v3, v83
	v_lshl_add_u64 v[2:3], v[2:3], 4, v[0:1]
	s_waitcnt lgkmcnt(0)
	global_store_dwordx4 v[2:3], v[6:9], off
	s_and_b64 exec, exec, vcc
	s_cbranch_execz .LBB0_26
; %bb.25:
	ds_read_b128 v[2:5], v83 offset:11424
	v_add_co_u32_e32 v0, vcc, 0x2000, v0
	s_nop 1
	v_addc_co_u32_e32 v1, vcc, 0, v1, vcc
	s_waitcnt lgkmcnt(0)
	global_store_dwordx4 v[0:1], v[2:5], off offset:3232
.LBB0_26:
	s_endpgm
	.section	.rodata,"a",@progbits
	.p2align	6, 0x0
	.amdhsa_kernel fft_rtc_back_len714_factors_3_17_7_2_wgs_51_tpt_51_halfLds_dp_op_CI_CI_unitstride_sbrr_R2C_dirReg
		.amdhsa_group_segment_fixed_size 0
		.amdhsa_private_segment_fixed_size 0
		.amdhsa_kernarg_size 104
		.amdhsa_user_sgpr_count 2
		.amdhsa_user_sgpr_dispatch_ptr 0
		.amdhsa_user_sgpr_queue_ptr 0
		.amdhsa_user_sgpr_kernarg_segment_ptr 1
		.amdhsa_user_sgpr_dispatch_id 0
		.amdhsa_user_sgpr_kernarg_preload_length 0
		.amdhsa_user_sgpr_kernarg_preload_offset 0
		.amdhsa_user_sgpr_private_segment_size 0
		.amdhsa_uses_dynamic_stack 0
		.amdhsa_enable_private_segment 0
		.amdhsa_system_sgpr_workgroup_id_x 1
		.amdhsa_system_sgpr_workgroup_id_y 0
		.amdhsa_system_sgpr_workgroup_id_z 0
		.amdhsa_system_sgpr_workgroup_info 0
		.amdhsa_system_vgpr_workitem_id 0
		.amdhsa_next_free_vgpr 234
		.amdhsa_next_free_sgpr 58
		.amdhsa_accum_offset 236
		.amdhsa_reserve_vcc 1
		.amdhsa_float_round_mode_32 0
		.amdhsa_float_round_mode_16_64 0
		.amdhsa_float_denorm_mode_32 3
		.amdhsa_float_denorm_mode_16_64 3
		.amdhsa_dx10_clamp 1
		.amdhsa_ieee_mode 1
		.amdhsa_fp16_overflow 0
		.amdhsa_tg_split 0
		.amdhsa_exception_fp_ieee_invalid_op 0
		.amdhsa_exception_fp_denorm_src 0
		.amdhsa_exception_fp_ieee_div_zero 0
		.amdhsa_exception_fp_ieee_overflow 0
		.amdhsa_exception_fp_ieee_underflow 0
		.amdhsa_exception_fp_ieee_inexact 0
		.amdhsa_exception_int_div_zero 0
	.end_amdhsa_kernel
	.text
.Lfunc_end0:
	.size	fft_rtc_back_len714_factors_3_17_7_2_wgs_51_tpt_51_halfLds_dp_op_CI_CI_unitstride_sbrr_R2C_dirReg, .Lfunc_end0-fft_rtc_back_len714_factors_3_17_7_2_wgs_51_tpt_51_halfLds_dp_op_CI_CI_unitstride_sbrr_R2C_dirReg
                                        ; -- End function
	.section	.AMDGPU.csdata,"",@progbits
; Kernel info:
; codeLenInByte = 14324
; NumSgprs: 64
; NumVgprs: 234
; NumAgprs: 0
; TotalNumVgprs: 234
; ScratchSize: 0
; MemoryBound: 0
; FloatMode: 240
; IeeeMode: 1
; LDSByteSize: 0 bytes/workgroup (compile time only)
; SGPRBlocks: 7
; VGPRBlocks: 29
; NumSGPRsForWavesPerEU: 64
; NumVGPRsForWavesPerEU: 234
; AccumOffset: 236
; Occupancy: 2
; WaveLimiterHint : 1
; COMPUTE_PGM_RSRC2:SCRATCH_EN: 0
; COMPUTE_PGM_RSRC2:USER_SGPR: 2
; COMPUTE_PGM_RSRC2:TRAP_HANDLER: 0
; COMPUTE_PGM_RSRC2:TGID_X_EN: 1
; COMPUTE_PGM_RSRC2:TGID_Y_EN: 0
; COMPUTE_PGM_RSRC2:TGID_Z_EN: 0
; COMPUTE_PGM_RSRC2:TIDIG_COMP_CNT: 0
; COMPUTE_PGM_RSRC3_GFX90A:ACCUM_OFFSET: 58
; COMPUTE_PGM_RSRC3_GFX90A:TG_SPLIT: 0
	.text
	.p2alignl 6, 3212836864
	.fill 256, 4, 3212836864
	.type	__hip_cuid_c974e936770488c0,@object ; @__hip_cuid_c974e936770488c0
	.section	.bss,"aw",@nobits
	.globl	__hip_cuid_c974e936770488c0
__hip_cuid_c974e936770488c0:
	.byte	0                               ; 0x0
	.size	__hip_cuid_c974e936770488c0, 1

	.ident	"AMD clang version 19.0.0git (https://github.com/RadeonOpenCompute/llvm-project roc-6.4.0 25133 c7fe45cf4b819c5991fe208aaa96edf142730f1d)"
	.section	".note.GNU-stack","",@progbits
	.addrsig
	.addrsig_sym __hip_cuid_c974e936770488c0
	.amdgpu_metadata
---
amdhsa.kernels:
  - .agpr_count:     0
    .args:
      - .actual_access:  read_only
        .address_space:  global
        .offset:         0
        .size:           8
        .value_kind:     global_buffer
      - .offset:         8
        .size:           8
        .value_kind:     by_value
      - .actual_access:  read_only
        .address_space:  global
        .offset:         16
        .size:           8
        .value_kind:     global_buffer
      - .actual_access:  read_only
        .address_space:  global
        .offset:         24
        .size:           8
        .value_kind:     global_buffer
      - .actual_access:  read_only
        .address_space:  global
        .offset:         32
        .size:           8
        .value_kind:     global_buffer
      - .offset:         40
        .size:           8
        .value_kind:     by_value
      - .actual_access:  read_only
        .address_space:  global
        .offset:         48
        .size:           8
        .value_kind:     global_buffer
      - .actual_access:  read_only
        .address_space:  global
        .offset:         56
        .size:           8
        .value_kind:     global_buffer
      - .offset:         64
        .size:           4
        .value_kind:     by_value
      - .actual_access:  read_only
        .address_space:  global
        .offset:         72
        .size:           8
        .value_kind:     global_buffer
      - .actual_access:  read_only
        .address_space:  global
        .offset:         80
        .size:           8
        .value_kind:     global_buffer
      - .actual_access:  read_only
        .address_space:  global
        .offset:         88
        .size:           8
        .value_kind:     global_buffer
      - .actual_access:  write_only
        .address_space:  global
        .offset:         96
        .size:           8
        .value_kind:     global_buffer
    .group_segment_fixed_size: 0
    .kernarg_segment_align: 8
    .kernarg_segment_size: 104
    .language:       OpenCL C
    .language_version:
      - 2
      - 0
    .max_flat_workgroup_size: 51
    .name:           fft_rtc_back_len714_factors_3_17_7_2_wgs_51_tpt_51_halfLds_dp_op_CI_CI_unitstride_sbrr_R2C_dirReg
    .private_segment_fixed_size: 0
    .sgpr_count:     64
    .sgpr_spill_count: 0
    .symbol:         fft_rtc_back_len714_factors_3_17_7_2_wgs_51_tpt_51_halfLds_dp_op_CI_CI_unitstride_sbrr_R2C_dirReg.kd
    .uniform_work_group_size: 1
    .uses_dynamic_stack: false
    .vgpr_count:     234
    .vgpr_spill_count: 0
    .wavefront_size: 64
amdhsa.target:   amdgcn-amd-amdhsa--gfx950
amdhsa.version:
  - 1
  - 2
...

	.end_amdgpu_metadata
